;; amdgpu-corpus repo=ROCm/aiter kind=harvested arch=n/a opt=n/a

/root/src/amdgpu-assembly/repos/ROCm__aiter/hsa/gfx942/fmoe_2stages/fmoe_stage1_bf16_pertokenFp8_doweight_g1u1_144x64_pf3.co:	file format elf64-amdgpu

Disassembly of section .text:

0000000000002a00 <_ZN5aiter53fmoe_stage1_bf16_pertokenFp8_doweight_g1u1_144x64_pf3E>:
	s_and_b32 s1, s1, 0xffff                                   // 000000002A00: 8601FF01 0000FFFF
	s_load_dwordx2 s[8:9], s[0:1], 0x0                         // 000000002A08: C0060200 00000000
	s_load_dwordx2 s[20:21], s[0:1], 0x10                      // 000000002A10: C0060500 00000010
	s_load_dwordx2 s[24:25], s[0:1], 0x20                      // 000000002A18: C0060600 00000020
	s_load_dwordx2 s[48:49], s[0:1], 0x30                      // 000000002A20: C0060C00 00000030
	s_load_dwordx2 s[28:29], s[0:1], 0x40                      // 000000002A28: C0060700 00000040
	s_load_dwordx2 s[32:33], s[0:1], 0x50                      // 000000002A30: C0060800 00000050
	s_load_dwordx2 s[36:37], s[0:1], 0x60                      // 000000002A38: C0060900 00000060
	s_load_dwordx2 s[12:13], s[0:1], 0x70                      // 000000002A40: C0060300 00000070
	s_load_dwordx2 s[44:45], s[0:1], 0x80                      // 000000002A48: C0060B00 00000080
	s_mov_b32 s89, 0                                           // 000000002A50: BED90080
	s_load_dword s64, s[0:1], 0x90                             // 000000002A54: C0021000 00000090
	s_load_dword s65, s[0:1], 0xa0                             // 000000002A5C: C0021040 000000A0
	s_load_dword s66, s[0:1], 0xb0                             // 000000002A64: C0021080 000000B0
	s_load_dword s67, s[0:1], 0xc0                             // 000000002A6C: C00210C0 000000C0
	s_load_dword s68, s[0:1], 0xd0                             // 000000002A74: C0021100 000000D0
	s_load_dword s69, s[0:1], 0xe0                             // 000000002A7C: C0021140 000000E0
	s_load_dword s71, s[0:1], 0xf0                             // 000000002A84: C00211C0 000000F0
	s_load_dword s72, s[0:1], 0x100                            // 000000002A8C: C0021200 00000100
	s_load_dword s74, s[0:1], 0x110                            // 000000002A94: C0021280 00000110
	s_load_dword s76, s[0:1], 0x120                            // 000000002A9C: C0021300 00000120
	s_load_dword s56, s[0:1], 0x130                            // 000000002AA4: C0020E00 00000130
	s_load_dword s88, s[0:1], 0x140                            // 000000002AAC: C0021600 00000140
	s_load_dword s89, s[0:1], 0x150                            // 000000002AB4: C0021640 00000150
	s_load_dwordx2 s[40:41], s[0:1], 0x160                     // 000000002ABC: C0060A00 00000160
	v_lshrrev_b32_e32 v1, 10, v0                               // 000000002AC4: 2002008A
	v_lshrrev_b32_e32 v2, 10, v1                               // 000000002AC8: 2004028A
	v_and_b32_e32 v2, 0x3ff, v2                                // 000000002ACC: 260404FF 000003FF
	v_and_b32_e32 v1, 0x3ff, v1                                // 000000002AD4: 260202FF 000003FF
	v_and_b32_e32 v0, 0x3ff, v0                                // 000000002ADC: 260000FF 000003FF
	v_lshrrev_b32_e32 v3, 6, v0                                // 000000002AE4: 20060086
	v_and_b32_e32 v0, 63, v0                                   // 000000002AE8: 260000BF
	s_mov_b32 s2, s2                                           // 000000002AEC: BE820002
	s_mov_b32 s3, s3                                           // 000000002AF0: BE830003
	s_mov_b32 s4, s4                                           // 000000002AF4: BE840004
	v_readfirstlane_b32 s7, v3                                 // 000000002AF8: 7E0E0503
	s_waitcnt lgkmcnt(0)                                       // 000000002AFC: BF8CC07F
	s_and_b32 s49, s49, 0xffff                                 // 000000002B00: 8631FF31 0000FFFF
	s_load_dword s48, s[48:49], 0x0                            // 000000002B08: C0020C18 00000000
	s_and_b32 s45, s45, 0xffff                                 // 000000002B10: 862DFF2D 0000FFFF
	s_and_b32 s9, s9, 0xffff                                   // 000000002B18: 8609FF09 0000FFFF
	s_mul_i32 s60, s66, s68                                    // 000000002B20: 923C4442
	s_mul_i32 s61, s66, 4                                      // 000000002B24: 923D8442
	s_mov_b32 s22, s60                                         // 000000002B28: BE96003C
	s_mov_b32 s26, -16                                         // 000000002B2C: BE9A00D0
	s_mov_b32 s30, s61                                         // 000000002B30: BE9E003D
	s_mov_b32 s14, 0x240                                       // 000000002B34: BE8E00FF 00000240
	s_mov_b32 s38, -16                                         // 000000002B3C: BEA600D0
	s_mov_b32 s10, -16                                         // 000000002B40: BE8A00D0
	s_mov_b32 s34, 0x100                                       // 000000002B44: BEA200FF 00000100
	s_mov_b32 s23, 0x20000                                     // 000000002B4C: BE9700FF 00020000
	s_mov_b32 s27, 0x20000                                     // 000000002B54: BE9B00FF 00020000
	s_mov_b32 s31, 0x20000                                     // 000000002B5C: BE9F00FF 00020000
	s_mov_b32 s35, 0x20000                                     // 000000002B64: BEA300FF 00020000
	s_mov_b32 s15, 0x20000                                     // 000000002B6C: BE8F00FF 00020000
	s_mov_b32 s39, 0x20000                                     // 000000002B74: BEA700FF 00020000
	s_mov_b32 s11, 0x20000                                     // 000000002B7C: BE8B00FF 00020000
	s_and_b32 s21, s21, 0xffff                                 // 000000002B84: 8615FF15 0000FFFF
	s_and_b32 s25, s25, 0xffff                                 // 000000002B8C: 8619FF19 0000FFFF
	s_and_b32 s29, s29, 0xffff                                 // 000000002B94: 861DFF1D 0000FFFF
	s_and_b32 s33, s33, 0xffff                                 // 000000002B9C: 8621FF21 0000FFFF
	s_and_b32 s13, s13, 0xffff                                 // 000000002BA4: 860DFF0D 0000FFFF
	s_and_b32 s37, s37, 0xffff                                 // 000000002BAC: 8625FF25 0000FFFF
	s_or_b32 s21, s21, 0x40000                                 // 000000002BB4: 8715FF15 00040000
	s_or_b32 s25, s25, 0x40000                                 // 000000002BBC: 8719FF19 00040000
	s_or_b32 s29, s29, 0x40000                                 // 000000002BC4: 871DFF1D 00040000
	s_or_b32 s33, s33, 0x40000                                 // 000000002BCC: 8721FF21 00040000
	s_or_b32 s13, s13, 0x40000                                 // 000000002BD4: 870DFF0D 00040000
	s_or_b32 s37, s37, 0x40000                                 // 000000002BDC: 8725FF25 00040000
	s_mov_b32 s42, -16                                         // 000000002BE4: BEAA00D0
	s_mov_b32 s43, 0x20000                                     // 000000002BE8: BEAB00FF 00020000
	s_and_b32 s41, s41, 0xffff                                 // 000000002BF0: 8629FF29 0000FFFF
	s_or_b32 s41, s41, 0x40000                                 // 000000002BF8: 8729FF29 00040000
	v_accvgpr_write_b32 a167, 0                                // 000000002C00: D3D940A7 18000080
	v_mov_b32_e32 v168, 0                                      // 000000002C08: 7F500280
	s_waitcnt lgkmcnt(0)                                       // 000000002C0C: BF8CC07F
	s_mul_i32 s60, s3, 0x90                                    // 000000002C10: 923CFF03 00000090
	s_cmp_lt_i32 s60, s48                                      // 000000002C18: BF04303C
	s_cbranch_scc0 label_2F7B                                  // 000000002C1C: BF842EF0
	s_mov_b32 s80, 0                                           // 000000002C20: BED00080
	s_lshr_b32 s81, s64, s88                                   // 000000002C24: 8F515840
	s_mul_i32 s60, s3, 4                                       // 000000002C28: 923C8403
	s_add_u32 s44, s60, s44                                    // 000000002C2C: 802C2C3C
	s_addc_u32 s45, 0, s45                                     // 000000002C30: 822D2D80
	s_load_dword s5, s[44:45], 0x0                             // 000000002C34: C0020156 00000000
	s_mul_i32 s60, s3, 0x90                                    // 000000002C3C: 923CFF03 00000090
	s_mul_i32 s60, 4, s60                                      // 000000002C44: 923C3C84
	s_add_u32 s12, s60, s12                                    // 000000002C48: 800C0C3C
	s_addc_u32 s13, 0, s13                                     // 000000002C4C: 820D0D80
	v_and_b32_e32 v4, 15, v0                                   // 000000002C50: 2608008F
	v_lshlrev_b32_e32 v4, 2, v4                                // 000000002C54: 24080882
	buffer_load_dword v30, v4, s[12:15], 0 offen               // 000000002C58: E0501000 80031E04
	v_add_u32_e32 v4, 64, v4                                   // 000000002C60: 680808C0
	buffer_load_dword v31, v4, s[12:15], 0 offen               // 000000002C64: E0501000 80031F04
	v_add_u32_e32 v4, 64, v4                                   // 000000002C6C: 680808C0
	buffer_load_dword v32, v4, s[12:15], 0 offen               // 000000002C70: E0501000 80032004
	v_add_u32_e32 v4, 64, v4                                   // 000000002C78: 680808C0
	buffer_load_dword v33, v4, s[12:15], 0 offen               // 000000002C7C: E0501000 80032104
	v_add_u32_e32 v4, 64, v4                                   // 000000002C84: 680808C0
	buffer_load_dword v34, v4, s[12:15], 0 offen               // 000000002C88: E0501000 80032204
	v_add_u32_e32 v4, 64, v4                                   // 000000002C90: 680808C0
	buffer_load_dword v35, v4, s[12:15], 0 offen               // 000000002C94: E0501000 80032304
	v_add_u32_e32 v4, 64, v4                                   // 000000002C9C: 680808C0
	buffer_load_dword v36, v4, s[12:15], 0 offen               // 000000002CA0: E0501000 80032404
	v_add_u32_e32 v4, 64, v4                                   // 000000002CA8: 680808C0
	buffer_load_dword v37, v4, s[12:15], 0 offen               // 000000002CAC: E0501000 80032504
	v_add_u32_e32 v4, 64, v4                                   // 000000002CB4: 680808C0
	buffer_load_dword v38, v4, s[12:15], 0 offen               // 000000002CB8: E0501000 80032604
	v_add_u32_e32 v4, 64, v4                                   // 000000002CC0: 680808C0
	s_mul_i32 s60, 4, s7                                       // 000000002CC4: 923C0784
	v_lshlrev_b32_e32 v4, 4, v0                                // 000000002CC8: 24080084
	v_add_u32_e32 v4, s60, v4                                  // 000000002CCC: 6808083C
	buffer_load_dword v3, v4, s[12:15], 0 offen                // 000000002CD0: E0501000 80030304
	v_mov_b32_e32 v88, 0                                       // 000000002CD8: 7EB00280
	v_mov_b32_e32 v124, 0                                      // 000000002CDC: 7EF80280
	v_mov_b32_e32 v89, 0                                       // 000000002CE0: 7EB20280
	v_mov_b32_e32 v125, 0                                      // 000000002CE4: 7EFA0280
	v_mov_b32_e32 v90, 0                                       // 000000002CE8: 7EB40280
	v_mov_b32_e32 v126, 0                                      // 000000002CEC: 7EFC0280
	v_mov_b32_e32 v91, 0                                       // 000000002CF0: 7EB60280
	v_mov_b32_e32 v127, 0                                      // 000000002CF4: 7EFE0280
	v_mov_b32_e32 v92, 0                                       // 000000002CF8: 7EB80280
	v_mov_b32_e32 v128, 0                                      // 000000002CFC: 7F000280
	v_mov_b32_e32 v93, 0                                       // 000000002D00: 7EBA0280
	v_mov_b32_e32 v129, 0                                      // 000000002D04: 7F020280
	v_mov_b32_e32 v94, 0                                       // 000000002D08: 7EBC0280
	v_mov_b32_e32 v130, 0                                      // 000000002D0C: 7F040280
	v_mov_b32_e32 v95, 0                                       // 000000002D10: 7EBE0280
	v_mov_b32_e32 v131, 0                                      // 000000002D14: 7F060280
	v_mov_b32_e32 v96, 0                                       // 000000002D18: 7EC00280
	v_mov_b32_e32 v132, 0                                      // 000000002D1C: 7F080280
	v_mov_b32_e32 v97, 0                                       // 000000002D20: 7EC20280
	v_mov_b32_e32 v133, 0                                      // 000000002D24: 7F0A0280
	v_mov_b32_e32 v98, 0                                       // 000000002D28: 7EC40280
	v_mov_b32_e32 v134, 0                                      // 000000002D2C: 7F0C0280
	v_mov_b32_e32 v99, 0                                       // 000000002D30: 7EC60280
	v_mov_b32_e32 v135, 0                                      // 000000002D34: 7F0E0280
	v_mov_b32_e32 v100, 0                                      // 000000002D38: 7EC80280
	v_mov_b32_e32 v136, 0                                      // 000000002D3C: 7F100280
	v_mov_b32_e32 v101, 0                                      // 000000002D40: 7ECA0280
	v_mov_b32_e32 v137, 0                                      // 000000002D44: 7F120280
	v_mov_b32_e32 v102, 0                                      // 000000002D48: 7ECC0280
	v_mov_b32_e32 v138, 0                                      // 000000002D4C: 7F140280
	v_mov_b32_e32 v103, 0                                      // 000000002D50: 7ECE0280
	v_mov_b32_e32 v139, 0                                      // 000000002D54: 7F160280
	v_mov_b32_e32 v104, 0                                      // 000000002D58: 7ED00280
	v_mov_b32_e32 v140, 0                                      // 000000002D5C: 7F180280
	v_mov_b32_e32 v105, 0                                      // 000000002D60: 7ED20280
	v_mov_b32_e32 v141, 0                                      // 000000002D64: 7F1A0280
	v_mov_b32_e32 v106, 0                                      // 000000002D68: 7ED40280
	v_mov_b32_e32 v142, 0                                      // 000000002D6C: 7F1C0280
	v_mov_b32_e32 v107, 0                                      // 000000002D70: 7ED60280
	v_mov_b32_e32 v143, 0                                      // 000000002D74: 7F1E0280
	v_mov_b32_e32 v108, 0                                      // 000000002D78: 7ED80280
	v_mov_b32_e32 v144, 0                                      // 000000002D7C: 7F200280
	v_mov_b32_e32 v109, 0                                      // 000000002D80: 7EDA0280
	v_mov_b32_e32 v145, 0                                      // 000000002D84: 7F220280
	v_mov_b32_e32 v110, 0                                      // 000000002D88: 7EDC0280
	v_mov_b32_e32 v146, 0                                      // 000000002D8C: 7F240280
	v_mov_b32_e32 v111, 0                                      // 000000002D90: 7EDE0280
	v_mov_b32_e32 v147, 0                                      // 000000002D94: 7F260280
	v_mov_b32_e32 v112, 0                                      // 000000002D98: 7EE00280
	v_mov_b32_e32 v148, 0                                      // 000000002D9C: 7F280280
	v_mov_b32_e32 v113, 0                                      // 000000002DA0: 7EE20280
	v_mov_b32_e32 v149, 0                                      // 000000002DA4: 7F2A0280
	v_mov_b32_e32 v114, 0                                      // 000000002DA8: 7EE40280
	v_mov_b32_e32 v150, 0                                      // 000000002DAC: 7F2C0280
	v_mov_b32_e32 v115, 0                                      // 000000002DB0: 7EE60280
	v_mov_b32_e32 v151, 0                                      // 000000002DB4: 7F2E0280
	v_mov_b32_e32 v116, 0                                      // 000000002DB8: 7EE80280
	v_mov_b32_e32 v152, 0                                      // 000000002DBC: 7F300280
	v_mov_b32_e32 v117, 0                                      // 000000002DC0: 7EEA0280
	v_mov_b32_e32 v153, 0                                      // 000000002DC4: 7F320280
	v_mov_b32_e32 v118, 0                                      // 000000002DC8: 7EEC0280
	v_mov_b32_e32 v154, 0                                      // 000000002DCC: 7F340280
	v_mov_b32_e32 v119, 0                                      // 000000002DD0: 7EEE0280
	v_mov_b32_e32 v155, 0                                      // 000000002DD4: 7F360280
	v_mov_b32_e32 v120, 0                                      // 000000002DD8: 7EF00280
	v_mov_b32_e32 v156, 0                                      // 000000002DDC: 7F380280
	v_mov_b32_e32 v121, 0                                      // 000000002DE0: 7EF20280
	v_mov_b32_e32 v157, 0                                      // 000000002DE4: 7F3A0280
	v_mov_b32_e32 v122, 0                                      // 000000002DE8: 7EF40280
	v_mov_b32_e32 v158, 0                                      // 000000002DEC: 7F3C0280
	v_mov_b32_e32 v123, 0                                      // 000000002DF0: 7EF60280
	v_mov_b32_e32 v159, 0                                      // 000000002DF4: 7F3E0280
	s_mul_i32 s60, s2, 0x80                                    // 000000002DF8: 923CFF02 00000080
	s_cmp_eq_u32 s88, 0                                        // 000000002E00: BF068058
	s_cselect_b32 s61, 1, 2                                    // 000000002E04: 853D8281
	s_mul_i32 s60, s60, s61                                    // 000000002E08: 923C3D3C
	s_mov_b32 s90, s8                                          // 000000002E0C: BEDA0008
	s_mov_b32 s91, s9                                          // 000000002E10: BEDB0009
	s_add_u32 s8, s60, s8                                      // 000000002E14: 8008083C
	s_addc_u32 s9, 0, s9                                       // 000000002E18: 82090980
	v_lshrrev_b32_e32 v4, 4, v0                                // 000000002E1C: 20080084
	v_mul_lo_u32 v20, 34, v4                                   // 000000002E20: D2850014 000208A2
	v_and_b32_e32 v4, 15, v0                                   // 000000002E28: 2608008F
	v_mul_lo_u32 v5, 2, v4                                     // 000000002E2C: D2850005 00020882
	v_add_u32_e32 v20, v5, v20                                 // 000000002E34: 68282905
	s_mul_i32 s60, s7, 0x88                                    // 000000002E38: 923CFF07 00000088
	v_add_u32_e32 v20, s60, v20                                // 000000002E40: 6828283C
	v_lshlrev_b32_e32 v20, 2, v20                              // 000000002E44: 24282882
	v_and_b32_e32 v4, 31, v0                                   // 000000002E48: 2608009F
	v_lshrrev_b32_e32 v4, 1, v4                                // 000000002E4C: 20080881
	v_mul_lo_u32 v21, 34, v4                                   // 000000002E50: D2850015 000208A2
	v_lshrrev_b32_e32 v4, 5, v0                                // 000000002E58: 20080085
	v_mul_lo_u32 v4, 8, v4                                     // 000000002E5C: D2850004 00020888
	v_add_u32_e32 v21, v21, v4                                 // 000000002E64: 682A0915
	v_and_b32_e32 v5, 1, v0                                    // 000000002E68: 260A0081
	v_add_u32_e32 v21, v5, v21                                 // 000000002E6C: 682A2B05
	s_mul_i32 s60, s7, 2                                       // 000000002E70: 923C8207
	v_add_u32_e32 v21, s60, v21                                // 000000002E74: 682A2A3C
	v_lshlrev_b32_e32 v21, 2, v21                              // 000000002E78: 242A2A82
	s_mul_i32 s60, s7, 0x1220                                  // 000000002E7C: 923CFF07 00001220
	s_add_u32 s48, 0, s60                                      // 000000002E84: 80303C80
	s_add_u32 s49, 0x4880, s48                                 // 000000002E88: 803130FF 00004880
	s_add_u32 s50, 0x4880, s49                                 // 000000002E90: 803231FF 00004880
	v_lshrrev_b32_e32 v4, 4, v0                                // 000000002E98: 20080084
	v_lshlrev_b32_e32 v5, 2, v4                                // 000000002E9C: 240A0882
	v_and_b32_e32 v4, 15, v0                                   // 000000002EA0: 2608008F
	v_lshrrev_b32_e32 v6, 2, v4                                // 000000002EA4: 200C0882
	v_lshlrev_b32_e32 v6, 5, v6                                // 000000002EA8: 240C0C85
	v_add_u32_e32 v5, v6, v5                                   // 000000002EAC: 680A0B06
	v_and_b32_e32 v4, 3, v0                                    // 000000002EB0: 26080083
	v_mul_u32_u24_e32 v6, 0x488, v4                            // 000000002EB4: 100C08FF 00000488
	v_add_u32_e32 v5, v6, v5                                   // 000000002EBC: 680A0B06
	v_lshlrev_b32_e32 v2, 2, v5                                // 000000002EC0: 24040A82
	s_waitcnt lgkmcnt(0)                                       // 000000002EC4: BF8CC07F
	s_mul_i32 s60, s2, 64                                      // 000000002EC8: 923CC002
	s_mul_i32 s60, s60, s69                                    // 000000002ECC: 923C453C
	s_mul_i32 s61, s5, s72                                     // 000000002ED0: 923D4805
	s_add_u32 s60, s61, s60                                    // 000000002ED4: 803C3C3D
	s_add_u32 s24, s60, s24                                    // 000000002ED8: 8018183C
	s_addc_u32 s25, 0, s25                                     // 000000002EDC: 82191980
	s_lshr_b32 s60, s64, s88                                   // 000000002EE0: 8F3C5840
	s_mul_i32 s60, s4, s60                                     // 000000002EE4: 923C3C04
	s_lshr_b32 s60, s60, 7                                     // 000000002EE8: 8F3C873C
	s_mul_i32 s60, s60, 0x800                                  // 000000002EEC: 923CFF3C 00000800
	s_add_u32 s24, s60, s24                                    // 000000002EF4: 8018183C
	s_addc_u32 s25, 0, s25                                     // 000000002EF8: 82191980
	s_lshr_b32 s60, s69, s88                                   // 000000002EFC: 8F3C5845
	s_mul_i32 s60, s4, s60                                     // 000000002F00: 923C3C04
	s_add_u32 s20, s60, s20                                    // 000000002F04: 8014143C
	s_addc_u32 s21, 0, s21                                     // 000000002F08: 82151580
	s_mul_i32 s60, s7, 16                                      // 000000002F0C: 923C9007
	s_mul_i32 s60, s60, s69                                    // 000000002F10: 923C453C
	v_lshlrev_b32_e32 v84, 4, v0                               // 000000002F14: 24A80084
	v_add_u32_e32 v84, s60, v84                                // 000000002F18: 68A8A83C
	s_mul_i32 s60, 64, s69                                     // 000000002F1C: 923C45C0
	s_mov_b32 s84, s24                                         // 000000002F20: BED40018
	s_mov_b32 s85, s25                                         // 000000002F24: BED50019
	s_mov_b32 s86, s26                                         // 000000002F28: BED6001A
	s_mov_b32 s87, s27                                         // 000000002F2C: BED7001B
	s_mul_i32 s60, s69, s65                                    // 000000002F30: 923C4145
	s_add_u32 s84, s60, s84                                    // 000000002F34: 8054543C
	s_addc_u32 s85, 0, s85                                     // 000000002F38: 82555580
	v_lshrrev_b32_e32 v4, 4, v0                                // 000000002F3C: 20080084
	v_lshlrev_b32_e32 v5, 2, v4                                // 000000002F40: 240A0882
	v_and_b32_e32 v4, 15, v0                                   // 000000002F44: 2608008F
	v_lshrrev_b32_e32 v6, 2, v4                                // 000000002F48: 200C0882
	v_lshlrev_b32_e32 v6, 6, v6                                // 000000002F4C: 240C0C86
	v_add_u32_e32 v5, v6, v5                                   // 000000002F50: 680A0B06
	v_and_b32_e32 v4, 3, v0                                    // 000000002F54: 26080083
	v_add_u32_e32 v5, v4, v5                                   // 000000002F58: 680A0B04
	v_lshlrev_b32_e32 v22, 2, v5                               // 000000002F5C: 242C0A82
	s_mul_i32 s60, s7, 16                                      // 000000002F60: 923C9007
	s_mul_i32 s60, s60, 4                                      // 000000002F64: 923C843C
	v_add_u32_e32 v22, s60, v22                                // 000000002F68: 682C2C3C
	s_mul_i32 s60, s2, 64                                      // 000000002F6C: 923CC002
	s_mul_i32 s60, s60, 4                                      // 000000002F70: 923C843C
	s_mul_i32 s61, s5, s74                                     // 000000002F74: 923D4A05
	s_add_u32 s61, s61, s60                                    // 000000002F78: 803D3C3D
	s_add_u32 s32, s61, s32                                    // 000000002F7C: 8020203D
	s_addc_u32 s33, 0, s33                                     // 000000002F80: 82212180
	s_mov_b32 s57, 0x80                                        // 000000002F84: BEB900FF 00000080
	s_mov_b32 s58, 0x800                                       // 000000002F8C: BEBA00FF 00000800
	s_mov_b32 s83, s58                                         // 000000002F94: BED3003A
	s_mov_b32 s52, 0x7060302                                   // 000000002F98: BEB400FF 07060302
	s_mov_b32 s53, 0x400                                       // 000000002FA0: BEB500FF 00000400
	s_mov_b32 s54, 0x40100                                     // 000000002FA8: BEB600FF 00040100
	s_mov_b32 s55, 0x4020100                                   // 000000002FB0: BEB700FF 04020100
	s_mov_b32 s6, 0x3fb8aa3b                                   // 000000002FB8: BE8600FF 3FB8AA3B
	s_mov_b32 s78, 0xbd92220c                                  // 000000002FC0: BECE00FF BD92220C
	s_mov_b32 s79, 0xbd92220c                                  // 000000002FC8: BECF00FF BD92220C
	s_mov_b32 m0, s48                                          // 000000002FD0: BEFC0030
	v_mov_b32_e32 v1, 0xbfcc4231                               // 000000002FD4: 7E0202FF BFCC4231
	v_mov_b32_e32 v17, 0xffff0000                              // 000000002FDC: 7E2202FF FFFF0000
	v_mov_b32_e32 v18, 0x7fff0000                              // 000000002FE4: 7E2402FF 7FFF0000
	v_mov_b32_e32 v19, 0x7fff                                  // 000000002FEC: 7E2602FF 00007FFF
	s_waitcnt vmcnt(0) expcnt(0) lgkmcnt(0)                    // 000000002FF4: BF8C0000
	s_mul_i32 s60, s3, 0x90                                    // 000000002FF8: 923CFF03 00000090
	s_mul_i32 s60, 4, s60                                      // 000000003000: 923C3C84
	s_add_u32 s40, s60, s40                                    // 000000003004: 8028283C
	s_addc_u32 s41, 0, s41                                     // 000000003008: 82292980
	v_and_b32_e32 v4, 15, v0                                   // 00000000300C: 2608008F
	v_lshlrev_b32_e32 v4, 2, v4                                // 000000003010: 24080882
	buffer_load_dword v160, v4, s[40:43], 0 offen              // 000000003014: E0501000 800AA004
	buffer_load_dword v161, v4, s[40:43], 0 offen offset:64    // 00000000301C: E0501040 800AA104
	buffer_load_dword v162, v4, s[40:43], 0 offen offset:128   // 000000003024: E0501080 800AA204
	buffer_load_dword v163, v4, s[40:43], 0 offen offset:192   // 00000000302C: E05010C0 800AA304
	buffer_load_dword v164, v4, s[40:43], 0 offen offset:256   // 000000003034: E0501100 800AA404
	buffer_load_dword v165, v4, s[40:43], 0 offen offset:320   // 00000000303C: E0501140 800AA504
	buffer_load_dword v166, v4, s[40:43], 0 offen offset:384   // 000000003044: E0501180 800AA604
	buffer_load_dword v167, v4, s[40:43], 0 offen offset:448   // 00000000304C: E05011C0 800AA704
	buffer_load_dword v168, v4, s[40:43], 0 offen offset:512   // 000000003054: E0501200 800AA804
	v_lshrrev_b32_e32 v4, 5, v0                                // 00000000305C: 20080085
	v_xor_b32_e32 v5, 1, v4                                    // 000000003060: 2A0A0881
	v_readlane_b32 s82, v3, 0                                  // 000000003064: D2890052 00010103
	s_and_b32 s82, s82, 0xffffff                               // 00000000306C: 8652FF52 00FFFFFF
	v_mul_lo_u32 v6, v5, s82                                   // 000000003074: D2850006 0000A505
	v_readlane_b32 s82, v3, 1                                  // 00000000307C: D2890052 00010303
	s_and_b32 s82, s82, 0xffffff                               // 000000003084: 8652FF52 00FFFFFF
	v_mul_lo_u32 v7, v4, s82                                   // 00000000308C: D2850007 0000A504
	v_add_u32_e32 v66, v6, v7                                  // 000000003094: 68840F06
	v_mul_lo_u32 v66, v66, s68                                 // 000000003098: D2850042 00008942
	v_readlane_b32 s82, v3, 2                                  // 0000000030A0: D2890052 00010503
	s_and_b32 s82, s82, 0xffffff                               // 0000000030A8: 8652FF52 00FFFFFF
	v_mul_lo_u32 v6, v5, s82                                   // 0000000030B0: D2850006 0000A505
	v_readlane_b32 s82, v3, 3                                  // 0000000030B8: D2890052 00010703
	s_and_b32 s82, s82, 0xffffff                               // 0000000030C0: 8652FF52 00FFFFFF
	v_mul_lo_u32 v7, v4, s82                                   // 0000000030C8: D2850007 0000A504
	v_add_u32_e32 v67, v6, v7                                  // 0000000030D0: 68860F06
	v_mul_lo_u32 v67, v67, s68                                 // 0000000030D4: D2850043 00008943
	v_readlane_b32 s82, v3, 4                                  // 0000000030DC: D2890052 00010903
	s_and_b32 s82, s82, 0xffffff                               // 0000000030E4: 8652FF52 00FFFFFF
	v_mul_lo_u32 v6, v5, s82                                   // 0000000030EC: D2850006 0000A505
	v_readlane_b32 s82, v3, 5                                  // 0000000030F4: D2890052 00010B03
	s_and_b32 s82, s82, 0xffffff                               // 0000000030FC: 8652FF52 00FFFFFF
	v_mul_lo_u32 v7, v4, s82                                   // 000000003104: D2850007 0000A504
	v_add_u32_e32 v68, v6, v7                                  // 00000000310C: 68880F06
	v_mul_lo_u32 v68, v68, s68                                 // 000000003110: D2850044 00008944
	v_readlane_b32 s82, v3, 6                                  // 000000003118: D2890052 00010D03
	s_and_b32 s82, s82, 0xffffff                               // 000000003120: 8652FF52 00FFFFFF
	v_mul_lo_u32 v6, v5, s82                                   // 000000003128: D2850006 0000A505
	v_readlane_b32 s82, v3, 7                                  // 000000003130: D2890052 00010F03
	s_and_b32 s82, s82, 0xffffff                               // 000000003138: 8652FF52 00FFFFFF
	v_mul_lo_u32 v7, v4, s82                                   // 000000003140: D2850007 0000A504
	v_add_u32_e32 v69, v6, v7                                  // 000000003148: 688A0F06
	v_mul_lo_u32 v69, v69, s68                                 // 00000000314C: D2850045 00008945
	v_readlane_b32 s82, v3, 8                                  // 000000003154: D2890052 00011103
	s_and_b32 s82, s82, 0xffffff                               // 00000000315C: 8652FF52 00FFFFFF
	v_mul_lo_u32 v6, v5, s82                                   // 000000003164: D2850006 0000A505
	v_readlane_b32 s82, v3, 9                                  // 00000000316C: D2890052 00011303
	s_and_b32 s82, s82, 0xffffff                               // 000000003174: 8652FF52 00FFFFFF
	v_mul_lo_u32 v7, v4, s82                                   // 00000000317C: D2850007 0000A504
	v_add_u32_e32 v70, v6, v7                                  // 000000003184: 688C0F06
	v_mul_lo_u32 v70, v70, s68                                 // 000000003188: D2850046 00008946
	v_readlane_b32 s82, v3, 10                                 // 000000003190: D2890052 00011503
	s_and_b32 s82, s82, 0xffffff                               // 000000003198: 8652FF52 00FFFFFF
	v_mul_lo_u32 v6, v5, s82                                   // 0000000031A0: D2850006 0000A505
	v_readlane_b32 s82, v3, 11                                 // 0000000031A8: D2890052 00011703
	s_and_b32 s82, s82, 0xffffff                               // 0000000031B0: 8652FF52 00FFFFFF
	v_mul_lo_u32 v7, v4, s82                                   // 0000000031B8: D2850007 0000A504
	v_add_u32_e32 v71, v6, v7                                  // 0000000031C0: 688E0F06
	v_mul_lo_u32 v71, v71, s68                                 // 0000000031C4: D2850047 00008947
	v_readlane_b32 s82, v3, 12                                 // 0000000031CC: D2890052 00011903
	s_and_b32 s82, s82, 0xffffff                               // 0000000031D4: 8652FF52 00FFFFFF
	v_mul_lo_u32 v6, v5, s82                                   // 0000000031DC: D2850006 0000A505
	v_readlane_b32 s82, v3, 13                                 // 0000000031E4: D2890052 00011B03
	s_and_b32 s82, s82, 0xffffff                               // 0000000031EC: 8652FF52 00FFFFFF
	v_mul_lo_u32 v7, v4, s82                                   // 0000000031F4: D2850007 0000A504
	v_add_u32_e32 v72, v6, v7                                  // 0000000031FC: 68900F06
	v_mul_lo_u32 v72, v72, s68                                 // 000000003200: D2850048 00008948
	v_readlane_b32 s82, v3, 14                                 // 000000003208: D2890052 00011D03
	s_and_b32 s82, s82, 0xffffff                               // 000000003210: 8652FF52 00FFFFFF
	v_mul_lo_u32 v6, v5, s82                                   // 000000003218: D2850006 0000A505
	v_readlane_b32 s82, v3, 15                                 // 000000003220: D2890052 00011F03
	s_and_b32 s82, s82, 0xffffff                               // 000000003228: 8652FF52 00FFFFFF
	v_mul_lo_u32 v7, v4, s82                                   // 000000003230: D2850007 0000A504
	v_add_u32_e32 v73, v6, v7                                  // 000000003238: 68920F06
	v_mul_lo_u32 v73, v73, s68                                 // 00000000323C: D2850049 00008949
	v_readlane_b32 s82, v3, 16                                 // 000000003244: D2890052 00012103
	s_and_b32 s82, s82, 0xffffff                               // 00000000324C: 8652FF52 00FFFFFF
	v_mul_lo_u32 v6, v5, s82                                   // 000000003254: D2850006 0000A505
	v_readlane_b32 s82, v3, 17                                 // 00000000325C: D2890052 00012303
	s_and_b32 s82, s82, 0xffffff                               // 000000003264: 8652FF52 00FFFFFF
	v_mul_lo_u32 v7, v4, s82                                   // 00000000326C: D2850007 0000A504
	v_add_u32_e32 v74, v6, v7                                  // 000000003274: 68940F06
	v_mul_lo_u32 v74, v74, s68                                 // 000000003278: D285004A 0000894A
	v_readlane_b32 s82, v3, 18                                 // 000000003280: D2890052 00012503
	s_and_b32 s82, s82, 0xffffff                               // 000000003288: 8652FF52 00FFFFFF
	v_mul_lo_u32 v6, v5, s82                                   // 000000003290: D2850006 0000A505
	v_readlane_b32 s82, v3, 19                                 // 000000003298: D2890052 00012703
	s_and_b32 s82, s82, 0xffffff                               // 0000000032A0: 8652FF52 00FFFFFF
	v_mul_lo_u32 v7, v4, s82                                   // 0000000032A8: D2850007 0000A504
	v_add_u32_e32 v75, v6, v7                                  // 0000000032B0: 68960F06
	v_mul_lo_u32 v75, v75, s68                                 // 0000000032B4: D285004B 0000894B
	v_readlane_b32 s82, v3, 20                                 // 0000000032BC: D2890052 00012903
	s_and_b32 s82, s82, 0xffffff                               // 0000000032C4: 8652FF52 00FFFFFF
	v_mul_lo_u32 v6, v5, s82                                   // 0000000032CC: D2850006 0000A505
	v_readlane_b32 s82, v3, 21                                 // 0000000032D4: D2890052 00012B03
	s_and_b32 s82, s82, 0xffffff                               // 0000000032DC: 8652FF52 00FFFFFF
	v_mul_lo_u32 v7, v4, s82                                   // 0000000032E4: D2850007 0000A504
	v_add_u32_e32 v76, v6, v7                                  // 0000000032EC: 68980F06
	v_mul_lo_u32 v76, v76, s68                                 // 0000000032F0: D285004C 0000894C
	v_readlane_b32 s82, v3, 22                                 // 0000000032F8: D2890052 00012D03
	s_and_b32 s82, s82, 0xffffff                               // 000000003300: 8652FF52 00FFFFFF
	v_mul_lo_u32 v6, v5, s82                                   // 000000003308: D2850006 0000A505
	v_readlane_b32 s82, v3, 23                                 // 000000003310: D2890052 00012F03
	s_and_b32 s82, s82, 0xffffff                               // 000000003318: 8652FF52 00FFFFFF
	v_mul_lo_u32 v7, v4, s82                                   // 000000003320: D2850007 0000A504
	v_add_u32_e32 v77, v6, v7                                  // 000000003328: 689A0F06
	v_mul_lo_u32 v77, v77, s68                                 // 00000000332C: D285004D 0000894D
	v_readlane_b32 s82, v3, 24                                 // 000000003334: D2890052 00013103
	s_and_b32 s82, s82, 0xffffff                               // 00000000333C: 8652FF52 00FFFFFF
	v_mul_lo_u32 v6, v5, s82                                   // 000000003344: D2850006 0000A505
	v_readlane_b32 s82, v3, 25                                 // 00000000334C: D2890052 00013303
	s_and_b32 s82, s82, 0xffffff                               // 000000003354: 8652FF52 00FFFFFF
	v_mul_lo_u32 v7, v4, s82                                   // 00000000335C: D2850007 0000A504
	v_add_u32_e32 v78, v6, v7                                  // 000000003364: 689C0F06
	v_mul_lo_u32 v78, v78, s68                                 // 000000003368: D285004E 0000894E
	v_readlane_b32 s82, v3, 26                                 // 000000003370: D2890052 00013503
	s_and_b32 s82, s82, 0xffffff                               // 000000003378: 8652FF52 00FFFFFF
	v_mul_lo_u32 v6, v5, s82                                   // 000000003380: D2850006 0000A505
	v_readlane_b32 s82, v3, 27                                 // 000000003388: D2890052 00013703
	s_and_b32 s82, s82, 0xffffff                               // 000000003390: 8652FF52 00FFFFFF
	v_mul_lo_u32 v7, v4, s82                                   // 000000003398: D2850007 0000A504
	v_add_u32_e32 v79, v6, v7                                  // 0000000033A0: 689E0F06
	v_mul_lo_u32 v79, v79, s68                                 // 0000000033A4: D285004F 0000894F
	v_readlane_b32 s82, v3, 28                                 // 0000000033AC: D2890052 00013903
	s_and_b32 s82, s82, 0xffffff                               // 0000000033B4: 8652FF52 00FFFFFF
	v_mul_lo_u32 v6, v5, s82                                   // 0000000033BC: D2850006 0000A505
	v_readlane_b32 s82, v3, 29                                 // 0000000033C4: D2890052 00013B03
	s_and_b32 s82, s82, 0xffffff                               // 0000000033CC: 8652FF52 00FFFFFF
	v_mul_lo_u32 v7, v4, s82                                   // 0000000033D4: D2850007 0000A504
	v_add_u32_e32 v80, v6, v7                                  // 0000000033DC: 68A00F06
	v_mul_lo_u32 v80, v80, s68                                 // 0000000033E0: D2850050 00008950
	v_readlane_b32 s82, v3, 30                                 // 0000000033E8: D2890052 00013D03
	s_and_b32 s82, s82, 0xffffff                               // 0000000033F0: 8652FF52 00FFFFFF
	v_mul_lo_u32 v6, v5, s82                                   // 0000000033F8: D2850006 0000A505
	v_readlane_b32 s82, v3, 31                                 // 000000003400: D2890052 00013F03
	s_and_b32 s82, s82, 0xffffff                               // 000000003408: 8652FF52 00FFFFFF
	v_mul_lo_u32 v7, v4, s82                                   // 000000003410: D2850007 0000A504
	v_add_u32_e32 v81, v6, v7                                  // 000000003418: 68A20F06
	v_mul_lo_u32 v81, v81, s68                                 // 00000000341C: D2850051 00008951
	v_readlane_b32 s82, v3, 32                                 // 000000003424: D2890052 00014103
	s_and_b32 s82, s82, 0xffffff                               // 00000000342C: 8652FF52 00FFFFFF
	v_mul_lo_u32 v6, v5, s82                                   // 000000003434: D2850006 0000A505
	v_readlane_b32 s82, v3, 33                                 // 00000000343C: D2890052 00014303
	s_and_b32 s82, s82, 0xffffff                               // 000000003444: 8652FF52 00FFFFFF
	v_mul_lo_u32 v7, v4, s82                                   // 00000000344C: D2850007 0000A504
	v_add_u32_e32 v82, v6, v7                                  // 000000003454: 68A40F06
	v_mul_lo_u32 v82, v82, s68                                 // 000000003458: D2850052 00008952
	v_readlane_b32 s82, v3, 34                                 // 000000003460: D2890052 00014503
	s_and_b32 s82, s82, 0xffffff                               // 000000003468: 8652FF52 00FFFFFF
	v_mul_lo_u32 v6, v5, s82                                   // 000000003470: D2850006 0000A505
	v_readlane_b32 s82, v3, 35                                 // 000000003478: D2890052 00014703
	s_and_b32 s82, s82, 0xffffff                               // 000000003480: 8652FF52 00FFFFFF
	v_mul_lo_u32 v7, v4, s82                                   // 000000003488: D2850007 0000A504
	v_add_u32_e32 v83, v6, v7                                  // 000000003490: 68A60F06
	v_mul_lo_u32 v83, v83, s68                                 // 000000003494: D2850053 00008953
	v_and_b32_e32 v4, 31, v0                                   // 00000000349C: 2608009F
	v_lshlrev_b32_e32 v4, 2, v4                                // 0000000034A0: 24080882
	v_add_u32_e32 v66, v66, v4                                 // 0000000034A4: 68840942
	v_add_u32_e32 v67, v67, v4                                 // 0000000034A8: 68860943
	v_add_u32_e32 v68, v68, v4                                 // 0000000034AC: 68880944
	v_add_u32_e32 v69, v69, v4                                 // 0000000034B0: 688A0945
	v_add_u32_e32 v70, v70, v4                                 // 0000000034B4: 688C0946
	v_add_u32_e32 v71, v71, v4                                 // 0000000034B8: 688E0947
	v_add_u32_e32 v72, v72, v4                                 // 0000000034BC: 68900948
	v_add_u32_e32 v73, v73, v4                                 // 0000000034C0: 68920949
	v_add_u32_e32 v74, v74, v4                                 // 0000000034C4: 6894094A
	v_add_u32_e32 v75, v75, v4                                 // 0000000034C8: 6896094B
	v_add_u32_e32 v76, v76, v4                                 // 0000000034CC: 6898094C
	v_add_u32_e32 v77, v77, v4                                 // 0000000034D0: 689A094D
	v_add_u32_e32 v78, v78, v4                                 // 0000000034D4: 689C094E
	v_add_u32_e32 v79, v79, v4                                 // 0000000034D8: 689E094F
	v_add_u32_e32 v80, v80, v4                                 // 0000000034DC: 68A00950
	v_add_u32_e32 v81, v81, v4                                 // 0000000034E0: 68A20951
	v_add_u32_e32 v82, v82, v4                                 // 0000000034E4: 68A40952
	v_add_u32_e32 v83, v83, v4                                 // 0000000034E8: 68A60953
	v_and_b32_e32 v30, 0xffffff, v30                           // 0000000034EC: 263C3CFF 00FFFFFF
	v_lshlrev_b32_e32 v30, 2, v30                              // 0000000034F4: 243C3C82
	v_and_b32_e32 v31, 0xffffff, v31                           // 0000000034F8: 263E3EFF 00FFFFFF
	v_lshlrev_b32_e32 v31, 2, v31                              // 000000003500: 243E3E82
	v_and_b32_e32 v32, 0xffffff, v32                           // 000000003504: 264040FF 00FFFFFF
	v_lshlrev_b32_e32 v32, 2, v32                              // 00000000350C: 24404082
	v_and_b32_e32 v33, 0xffffff, v33                           // 000000003510: 264242FF 00FFFFFF
	v_lshlrev_b32_e32 v33, 2, v33                              // 000000003518: 24424282
	v_and_b32_e32 v34, 0xffffff, v34                           // 00000000351C: 264444FF 00FFFFFF
	v_lshlrev_b32_e32 v34, 2, v34                              // 000000003524: 24444482
	v_and_b32_e32 v35, 0xffffff, v35                           // 000000003528: 264646FF 00FFFFFF
	v_lshlrev_b32_e32 v35, 2, v35                              // 000000003530: 24464682
	v_and_b32_e32 v36, 0xffffff, v36                           // 000000003534: 264848FF 00FFFFFF
	v_lshlrev_b32_e32 v36, 2, v36                              // 00000000353C: 24484882
	v_and_b32_e32 v37, 0xffffff, v37                           // 000000003540: 264A4AFF 00FFFFFF
	v_lshlrev_b32_e32 v37, 2, v37                              // 000000003548: 244A4A82
	v_and_b32_e32 v38, 0xffffff, v38                           // 00000000354C: 264C4CFF 00FFFFFF
	v_lshlrev_b32_e32 v38, 2, v38                              // 000000003554: 244C4C82
	s_lshl_b32 s3, s66, 2                                      // 000000003558: 8E038242
	buffer_load_dword v39, v30, s[28:31], 0 offen              // 00000000355C: E0501000 8007271E
	buffer_load_dword v40, v31, s[28:31], 0 offen              // 000000003564: E0501000 8007281F
	buffer_load_dword v41, v32, s[28:31], 0 offen              // 00000000356C: E0501000 80072920
	buffer_load_dword v42, v33, s[28:31], 0 offen              // 000000003574: E0501000 80072A21
	buffer_load_dword v43, v34, s[28:31], 0 offen              // 00000000357C: E0501000 80072B22
	buffer_load_dword v44, v35, s[28:31], 0 offen              // 000000003584: E0501000 80072C23
	buffer_load_dword v45, v36, s[28:31], 0 offen              // 00000000358C: E0501000 80072D24
	buffer_load_dword v46, v37, s[28:31], 0 offen              // 000000003594: E0501000 80072E25
	buffer_load_dword v47, v38, s[28:31], 0 offen              // 00000000359C: E0501000 80072F26
	buffer_load_dword v24, v22, s[32:35], 0 offen              // 0000000035A4: E0501000 80081816
	s_mul_i32 s60, 4, s65                                      // 0000000035AC: 923C4184
	s_add_u32 s32, s60, s32                                    // 0000000035B0: 8020203C
	s_addc_u32 s33, 0, s33                                     // 0000000035B4: 82212180
	buffer_load_dword v27, v22, s[32:35], 0 offen              // 0000000035B8: E0501000 80081B16
	buffer_load_dword v66, s[20:23], 0 offen lds               // 0000000035C0: E0511000 80050042
	s_add_u32 m0, 0x100, s48                                   // 0000000035C8: 807C30FF 00000100
	buffer_load_dword v67, s[20:23], 0 offen lds               // 0000000035D0: E0511000 80050043
	s_add_u32 m0, 0x200, s48                                   // 0000000035D8: 807C30FF 00000200
	buffer_load_dword v68, s[20:23], 0 offen lds               // 0000000035E0: E0511000 80050044
	s_add_u32 m0, 0x300, s48                                   // 0000000035E8: 807C30FF 00000300
	buffer_load_dword v69, s[20:23], 0 offen lds               // 0000000035F0: E0511000 80050045
	s_add_u32 m0, 0x400, s48                                   // 0000000035F8: 807C30FF 00000400
	buffer_load_dword v70, s[20:23], 0 offen lds               // 000000003600: E0511000 80050046
	s_add_u32 m0, 0x500, s48                                   // 000000003608: 807C30FF 00000500
	buffer_load_dword v71, s[20:23], 0 offen lds               // 000000003610: E0511000 80050047
	s_add_u32 m0, 0x600, s48                                   // 000000003618: 807C30FF 00000600
	;; [unrolled: 2-line block ×4, first 2 shown]
	buffer_load_dword v74, s[20:23], 0 offen lds               // 000000003640: E0511000 8005004A
	s_add_u32 m0, 0x900, s48                                   // 000000003648: 807C30FF 00000900
	buffer_load_dword v75, s[20:23], 0 offen lds               // 000000003650: E0511000 8005004B
	s_add_u32 m0, 0xa00, s48                                   // 000000003658: 807C30FF 00000A00
	buffer_load_dword v76, s[20:23], 0 offen lds               // 000000003660: E0511000 8005004C
	s_add_u32 m0, 0xb00, s48                                   // 000000003668: 807C30FF 00000B00
	buffer_load_dword v77, s[20:23], 0 offen lds               // 000000003670: E0511000 8005004D
	s_add_u32 m0, 0xc00, s48                                   // 000000003678: 807C30FF 00000C00
	buffer_load_dword v78, s[20:23], 0 offen lds               // 000000003680: E0511000 8005004E
	s_add_u32 m0, 0xd00, s48                                   // 000000003688: 807C30FF 00000D00
	buffer_load_dword v79, s[20:23], 0 offen lds               // 000000003690: E0511000 8005004F
	s_add_u32 m0, 0xe00, s48                                   // 000000003698: 807C30FF 00000E00
	buffer_load_dword v80, s[20:23], 0 offen lds               // 0000000036A0: E0511000 80050050
	s_add_u32 m0, 0xf00, s48                                   // 0000000036A8: 807C30FF 00000F00
	buffer_load_dword v81, s[20:23], 0 offen lds               // 0000000036B0: E0511000 80050051
	s_add_u32 m0, 0x1000, s48                                  // 0000000036B8: 807C30FF 00001000
	buffer_load_dword v82, s[20:23], 0 offen lds               // 0000000036C0: E0511000 80050052
	s_add_u32 m0, 0x1100, s48                                  // 0000000036C8: 807C30FF 00001100
	buffer_load_dword v83, s[20:23], 0 offen lds               // 0000000036D0: E0511000 80050053
	s_add_u32 m0, 0, s49                                       // 0000000036D8: 807C3180
	s_add_u32 s20, s57, s20                                    // 0000000036DC: 80141439
	s_addc_u32 s21, 0, s21                                     // 0000000036E0: 82151580
	buffer_load_dwordx4 a[144:147], v84, s[24:27], 0 offen     // 0000000036E4: E05C1000 80869054
	buffer_load_dwordx4 a[148:151], v84, s[24:27], 0 offen offset:1024// 0000000036EC: E05C1400 80869454
	s_add_u32 s24, s58, s24                                    // 0000000036F4: 8018183A
	s_addc_u32 s25, 0, s25                                     // 0000000036F8: 82191980
	buffer_load_dword v66, s[20:23], 0 offen lds               // 0000000036FC: E0511000 80050042
	s_add_u32 m0, 0x100, s49                                   // 000000003704: 807C31FF 00000100
	buffer_load_dword v67, s[20:23], 0 offen lds               // 00000000370C: E0511000 80050043
	s_add_u32 m0, 0x200, s49                                   // 000000003714: 807C31FF 00000200
	buffer_load_dword v68, s[20:23], 0 offen lds               // 00000000371C: E0511000 80050044
	s_add_u32 m0, 0x300, s49                                   // 000000003724: 807C31FF 00000300
	buffer_load_dword v69, s[20:23], 0 offen lds               // 00000000372C: E0511000 80050045
	s_add_u32 m0, 0x400, s49                                   // 000000003734: 807C31FF 00000400
	buffer_load_dword v70, s[20:23], 0 offen lds               // 00000000373C: E0511000 80050046
	s_add_u32 m0, 0x500, s49                                   // 000000003744: 807C31FF 00000500
	buffer_load_dword v71, s[20:23], 0 offen lds               // 00000000374C: E0511000 80050047
	s_add_u32 m0, 0x600, s49                                   // 000000003754: 807C31FF 00000600
	buffer_load_dword v72, s[20:23], 0 offen lds               // 00000000375C: E0511000 80050048
	s_add_u32 m0, 0x700, s49                                   // 000000003764: 807C31FF 00000700
	buffer_load_dword v73, s[20:23], 0 offen lds               // 00000000376C: E0511000 80050049
	s_add_u32 m0, 0x800, s49                                   // 000000003774: 807C31FF 00000800
	buffer_load_dword v74, s[20:23], 0 offen lds               // 00000000377C: E0511000 8005004A
	s_add_u32 m0, 0x900, s49                                   // 000000003784: 807C31FF 00000900
	buffer_load_dword v75, s[20:23], 0 offen lds               // 00000000378C: E0511000 8005004B
	s_add_u32 m0, 0xa00, s49                                   // 000000003794: 807C31FF 00000A00
	buffer_load_dword v76, s[20:23], 0 offen lds               // 00000000379C: E0511000 8005004C
	s_add_u32 m0, 0xb00, s49                                   // 0000000037A4: 807C31FF 00000B00
	buffer_load_dword v77, s[20:23], 0 offen lds               // 0000000037AC: E0511000 8005004D
	s_add_u32 m0, 0xc00, s49                                   // 0000000037B4: 807C31FF 00000C00
	buffer_load_dword v78, s[20:23], 0 offen lds               // 0000000037BC: E0511000 8005004E
	s_add_u32 m0, 0xd00, s49                                   // 0000000037C4: 807C31FF 00000D00
	buffer_load_dword v79, s[20:23], 0 offen lds               // 0000000037CC: E0511000 8005004F
	s_add_u32 m0, 0xe00, s49                                   // 0000000037D4: 807C31FF 00000E00
	buffer_load_dword v80, s[20:23], 0 offen lds               // 0000000037DC: E0511000 80050050
	s_add_u32 m0, 0xf00, s49                                   // 0000000037E4: 807C31FF 00000F00
	buffer_load_dword v81, s[20:23], 0 offen lds               // 0000000037EC: E0511000 80050051
	s_add_u32 m0, 0x1000, s49                                  // 0000000037F4: 807C31FF 00001000
	buffer_load_dword v82, s[20:23], 0 offen lds               // 0000000037FC: E0511000 80050052
	s_add_u32 m0, 0x1100, s49                                  // 000000003804: 807C31FF 00001100
	buffer_load_dword v83, s[20:23], 0 offen lds               // 00000000380C: E0511000 80050053
	s_add_u32 m0, 0, s50                                       // 000000003814: 807C3280
	s_add_u32 s20, s57, s20                                    // 000000003818: 80141439
	s_addc_u32 s21, 0, s21                                     // 00000000381C: 82151580
	buffer_load_dwordx4 a[152:155], v84, s[84:87], 0 offen     // 000000003820: E05C1000 80959854
	buffer_load_dwordx4 a[156:159], v84, s[84:87], 0 offen offset:1024// 000000003828: E05C1400 80959C54
	s_add_u32 s84, s83, s84                                    // 000000003830: 80545453
	s_addc_u32 s85, 0, s85                                     // 000000003834: 82555580
	s_waitcnt vmcnt(22)                                        // 000000003838: BF8C4F76
	s_barrier                                                  // 00000000383C: BF8A0000
	ds_read_b128 a[0:3], v2                                    // 000000003840: DBFE0000 00000002
	ds_read_b128 a[4:7], v2 offset:64                          // 000000003848: DBFE0040 04000002
	ds_read_b128 a[8:11], v2 offset:512                        // 000000003850: DBFE0200 08000002
	ds_read_b128 a[12:15], v2 offset:576                       // 000000003858: DBFE0240 0C000002
	ds_read_b128 a[16:19], v2 offset:1024                      // 000000003860: DBFE0400 10000002
	ds_read_b128 a[20:23], v2 offset:1088                      // 000000003868: DBFE0440 14000002
	ds_read_b128 a[24:27], v2 offset:1536                      // 000000003870: DBFE0600 18000002
	ds_read_b128 a[28:31], v2 offset:1600                      // 000000003878: DBFE0640 1C000002
	ds_read_b128 a[32:35], v2 offset:2048                      // 000000003880: DBFE0800 20000002
	ds_read_b128 a[36:39], v2 offset:2112                      // 000000003888: DBFE0840 24000002
	ds_read_b128 a[40:43], v2 offset:2560                      // 000000003890: DBFE0A00 28000002
	ds_read_b128 a[44:47], v2 offset:2624                      // 000000003898: DBFE0A40 2C000002
	ds_read_b128 a[48:51], v2 offset:3072                      // 0000000038A0: DBFE0C00 30000002
	ds_read_b128 a[52:55], v2 offset:3136                      // 0000000038A8: DBFE0C40 34000002
	ds_read_b128 a[56:59], v2 offset:3584                      // 0000000038B0: DBFE0E00 38000002
	ds_read_b128 a[60:63], v2 offset:3648                      // 0000000038B8: DBFE0E40 3C000002
	ds_read_b128 a[64:67], v2 offset:4096                      // 0000000038C0: DBFE1000 40000002
	ds_read_b128 a[68:71], v2 offset:4160                      // 0000000038C8: DBFE1040 44000002
	s_cmp_lt_i32 s7, 2                                         // 0000000038D0: BF048207
	s_cbranch_scc0 label_199A                                  // 0000000038D4: BF8415E1

00000000000038d8 <label_03B6>:
	s_waitcnt vmcnt(20) lgkmcnt(0)                             // 0000000038D8: BF8C4074
	v_mfma_f32_16x16x32_fp8_fp8 v[88:91], a[144:145], a[0:1], v[88:91]// 0000000038DC: D3F30058 1D620190
	v_mfma_f32_16x16x32_fp8_fp8 v[88:91], a[146:147], a[2:3], v[88:91]// 0000000038E4: D3F30058 1D620592
	buffer_load_dwordx4 a[160:163], v84, s[24:27], 0 offen     // 0000000038EC: E05C1000 8086A054
	v_mfma_f32_16x16x32_fp8_fp8 v[88:91], a[148:149], a[4:5], v[88:91]// 0000000038F4: D3F30058 1D620994
	v_mfma_f32_16x16x32_fp8_fp8 v[88:91], a[150:151], a[6:7], v[88:91]// 0000000038FC: D3F30058 1D620D96
	v_mfma_f32_16x16x32_fp8_fp8 v[92:95], a[144:145], a[8:9], v[92:95]// 000000003904: D3F3005C 1D721190
	v_mfma_f32_16x16x32_fp8_fp8 v[92:95], a[146:147], a[10:11], v[92:95]// 00000000390C: D3F3005C 1D721592
	buffer_load_dwordx4 a[164:167], v84, s[24:27], 0 offen offset:1024// 000000003914: E05C1400 8086A454
	buffer_load_dword v66, s[20:23], 0 offen lds               // 00000000391C: E0511000 80050042
	s_add_u32 m0, 0x100, s50                                   // 000000003924: 807C32FF 00000100
	v_mfma_f32_16x16x32_fp8_fp8 v[92:95], a[148:149], a[12:13], v[92:95]// 00000000392C: D3F3005C 1D721994
	v_mfma_f32_16x16x32_fp8_fp8 v[92:95], a[150:151], a[14:15], v[92:95]// 000000003934: D3F3005C 1D721D96
	buffer_load_dword v67, s[20:23], 0 offen lds               // 00000000393C: E0511000 80050043
	s_add_u32 m0, 0x200, s50                                   // 000000003944: 807C32FF 00000200
	v_mfma_f32_16x16x32_fp8_fp8 v[96:99], a[144:145], a[16:17], v[96:99]// 00000000394C: D3F30060 1D822190
	v_mfma_f32_16x16x32_fp8_fp8 v[96:99], a[146:147], a[18:19], v[96:99]// 000000003954: D3F30060 1D822592
	buffer_load_dword v68, s[20:23], 0 offen lds               // 00000000395C: E0511000 80050044
	s_add_u32 m0, 0x300, s50                                   // 000000003964: 807C32FF 00000300
	v_mfma_f32_16x16x32_fp8_fp8 v[96:99], a[148:149], a[20:21], v[96:99]// 00000000396C: D3F30060 1D822994
	v_mfma_f32_16x16x32_fp8_fp8 v[96:99], a[150:151], a[22:23], v[96:99]// 000000003974: D3F30060 1D822D96
	buffer_load_dword v69, s[20:23], 0 offen lds               // 00000000397C: E0511000 80050045
	s_add_u32 m0, 0x400, s50                                   // 000000003984: 807C32FF 00000400
	v_mfma_f32_16x16x32_fp8_fp8 v[100:103], a[144:145], a[24:25], v[100:103]// 00000000398C: D3F30064 1D923190
	v_mfma_f32_16x16x32_fp8_fp8 v[100:103], a[146:147], a[26:27], v[100:103]// 000000003994: D3F30064 1D923592
	buffer_load_dword v70, s[20:23], 0 offen lds               // 00000000399C: E0511000 80050046
	s_add_u32 m0, 0x500, s50                                   // 0000000039A4: 807C32FF 00000500
	v_mfma_f32_16x16x32_fp8_fp8 v[100:103], a[148:149], a[28:29], v[100:103]// 0000000039AC: D3F30064 1D923994
	v_mfma_f32_16x16x32_fp8_fp8 v[100:103], a[150:151], a[30:31], v[100:103]// 0000000039B4: D3F30064 1D923D96
	buffer_load_dword v71, s[20:23], 0 offen lds               // 0000000039BC: E0511000 80050047
	s_add_u32 m0, 0x600, s50                                   // 0000000039C4: 807C32FF 00000600
	v_mfma_f32_16x16x32_fp8_fp8 v[104:107], a[144:145], a[32:33], v[104:107]// 0000000039CC: D3F30068 1DA24190
	v_mfma_f32_16x16x32_fp8_fp8 v[104:107], a[146:147], a[34:35], v[104:107]// 0000000039D4: D3F30068 1DA24592
	buffer_load_dword v72, s[20:23], 0 offen lds               // 0000000039DC: E0511000 80050048
	s_add_u32 m0, 0x700, s50                                   // 0000000039E4: 807C32FF 00000700
	v_mfma_f32_16x16x32_fp8_fp8 v[104:107], a[148:149], a[36:37], v[104:107]// 0000000039EC: D3F30068 1DA24994
	v_mfma_f32_16x16x32_fp8_fp8 v[104:107], a[150:151], a[38:39], v[104:107]// 0000000039F4: D3F30068 1DA24D96
	buffer_load_dword v73, s[20:23], 0 offen lds               // 0000000039FC: E0511000 80050049
	s_add_u32 m0, 0x800, s50                                   // 000000003A04: 807C32FF 00000800
	v_mfma_f32_16x16x32_fp8_fp8 v[108:111], a[144:145], a[40:41], v[108:111]// 000000003A0C: D3F3006C 1DB25190
	v_mfma_f32_16x16x32_fp8_fp8 v[108:111], a[146:147], a[42:43], v[108:111]// 000000003A14: D3F3006C 1DB25592
	buffer_load_dword v74, s[20:23], 0 offen lds               // 000000003A1C: E0511000 8005004A
	s_add_u32 m0, 0x900, s50                                   // 000000003A24: 807C32FF 00000900
	v_mfma_f32_16x16x32_fp8_fp8 v[108:111], a[148:149], a[44:45], v[108:111]// 000000003A2C: D3F3006C 1DB25994
	v_mfma_f32_16x16x32_fp8_fp8 v[108:111], a[150:151], a[46:47], v[108:111]// 000000003A34: D3F3006C 1DB25D96
	buffer_load_dword v75, s[20:23], 0 offen lds               // 000000003A3C: E0511000 8005004B
	s_add_u32 m0, 0xa00, s50                                   // 000000003A44: 807C32FF 00000A00
	v_mfma_f32_16x16x32_fp8_fp8 v[112:115], a[144:145], a[48:49], v[112:115]// 000000003A4C: D3F30070 1DC26190
	v_mfma_f32_16x16x32_fp8_fp8 v[112:115], a[146:147], a[50:51], v[112:115]// 000000003A54: D3F30070 1DC26592
	buffer_load_dword v76, s[20:23], 0 offen lds               // 000000003A5C: E0511000 8005004C
	s_add_u32 m0, 0xb00, s50                                   // 000000003A64: 807C32FF 00000B00
	v_mfma_f32_16x16x32_fp8_fp8 v[112:115], a[148:149], a[52:53], v[112:115]// 000000003A6C: D3F30070 1DC26994
	v_mfma_f32_16x16x32_fp8_fp8 v[112:115], a[150:151], a[54:55], v[112:115]// 000000003A74: D3F30070 1DC26D96
	buffer_load_dword v77, s[20:23], 0 offen lds               // 000000003A7C: E0511000 8005004D
	s_add_u32 m0, 0xc00, s50                                   // 000000003A84: 807C32FF 00000C00
	v_mfma_f32_16x16x32_fp8_fp8 v[116:119], a[144:145], a[56:57], v[116:119]// 000000003A8C: D3F30074 1DD27190
	v_mfma_f32_16x16x32_fp8_fp8 v[116:119], a[146:147], a[58:59], v[116:119]// 000000003A94: D3F30074 1DD27592
	buffer_load_dword v78, s[20:23], 0 offen lds               // 000000003A9C: E0511000 8005004E
	s_add_u32 m0, 0xd00, s50                                   // 000000003AA4: 807C32FF 00000D00
	v_mfma_f32_16x16x32_fp8_fp8 v[116:119], a[148:149], a[60:61], v[116:119]// 000000003AAC: D3F30074 1DD27994
	v_mfma_f32_16x16x32_fp8_fp8 v[116:119], a[150:151], a[62:63], v[116:119]// 000000003AB4: D3F30074 1DD27D96
	buffer_load_dword v79, s[20:23], 0 offen lds               // 000000003ABC: E0511000 8005004F
	s_add_u32 m0, 0xe00, s50                                   // 000000003AC4: 807C32FF 00000E00
	v_mfma_f32_16x16x32_fp8_fp8 v[120:123], a[144:145], a[64:65], v[120:123]// 000000003ACC: D3F30078 1DE28190
	v_mfma_f32_16x16x32_fp8_fp8 v[120:123], a[146:147], a[66:67], v[120:123]// 000000003AD4: D3F30078 1DE28592
	buffer_load_dword v80, s[20:23], 0 offen lds               // 000000003ADC: E0511000 80050050
	s_add_u32 m0, 0xf00, s50                                   // 000000003AE4: 807C32FF 00000F00
	v_mfma_f32_16x16x32_fp8_fp8 v[120:123], a[148:149], a[68:69], v[120:123]// 000000003AEC: D3F30078 1DE28994
	v_mfma_f32_16x16x32_fp8_fp8 v[120:123], a[150:151], a[70:71], v[120:123]// 000000003AF4: D3F30078 1DE28D96
	buffer_load_dword v81, s[20:23], 0 offen lds               // 000000003AFC: E0511000 80050051
	s_add_u32 m0, 0x1000, s50                                  // 000000003B04: 807C32FF 00001000
	buffer_load_dword v82, s[20:23], 0 offen lds               // 000000003B0C: E0511000 80050052
	s_add_u32 m0, 0x1100, s50                                  // 000000003B14: 807C32FF 00001100
	buffer_load_dword v83, s[20:23], 0 offen lds               // 000000003B1C: E0511000 80050053
	s_add_u32 m0, 0, s48                                       // 000000003B24: 807C3080
	s_waitcnt vmcnt(20)                                        // 000000003B28: BF8C4F74
	s_barrier                                                  // 000000003B2C: BF8A0000
	v_mfma_f32_16x16x32_fp8_fp8 v[124:127], a[152:153], a[0:1], v[124:127]// 000000003B30: D3F3007C 1DF20198
	v_mfma_f32_16x16x32_fp8_fp8 v[124:127], a[154:155], a[2:3], v[124:127]// 000000003B38: D3F3007C 1DF2059A
	buffer_load_dwordx4 a[144:147], v84, s[84:87], 0 offen     // 000000003B40: E05C1000 80959054
	v_mfma_f32_16x16x32_fp8_fp8 v[124:127], a[156:157], a[4:5], v[124:127]// 000000003B48: D3F3007C 1DF2099C
	v_mfma_f32_16x16x32_fp8_fp8 v[124:127], a[158:159], a[6:7], v[124:127]// 000000003B50: D3F3007C 1DF20D9E
	ds_read_b128 a[72:75], v2 offset:18560                     // 000000003B58: DBFE4880 48000002
	ds_read_b128 a[76:79], v2 offset:18624                     // 000000003B60: DBFE48C0 4C000002
	v_mfma_f32_16x16x32_fp8_fp8 v[128:131], a[152:153], a[8:9], v[128:131]// 000000003B68: D3F30080 1E021198
	v_mfma_f32_16x16x32_fp8_fp8 v[128:131], a[154:155], a[10:11], v[128:131]// 000000003B70: D3F30080 1E02159A
	buffer_load_dwordx4 a[148:151], v84, s[84:87], 0 offen offset:1024// 000000003B78: E05C1400 80959454
	v_mfma_f32_16x16x32_fp8_fp8 v[128:131], a[156:157], a[12:13], v[128:131]// 000000003B80: D3F30080 1E02199C
	v_mfma_f32_16x16x32_fp8_fp8 v[128:131], a[158:159], a[14:15], v[128:131]// 000000003B88: D3F30080 1E021D9E
	ds_read_b128 a[80:83], v2 offset:19072                     // 000000003B90: DBFE4A80 50000002
	ds_read_b128 a[84:87], v2 offset:19136                     // 000000003B98: DBFE4AC0 54000002
	v_mfma_f32_16x16x32_fp8_fp8 v[132:135], a[152:153], a[16:17], v[132:135]// 000000003BA0: D3F30084 1E122198
	v_mfma_f32_16x16x32_fp8_fp8 v[132:135], a[154:155], a[18:19], v[132:135]// 000000003BA8: D3F30084 1E12259A
	v_mfma_f32_16x16x32_fp8_fp8 v[132:135], a[156:157], a[20:21], v[132:135]// 000000003BB0: D3F30084 1E12299C
	v_mfma_f32_16x16x32_fp8_fp8 v[132:135], a[158:159], a[22:23], v[132:135]// 000000003BB8: D3F30084 1E122D9E
	ds_read_b128 a[88:91], v2 offset:19584                     // 000000003BC0: DBFE4C80 58000002
	ds_read_b128 a[92:95], v2 offset:19648                     // 000000003BC8: DBFE4CC0 5C000002
	v_mfma_f32_16x16x32_fp8_fp8 v[136:139], a[152:153], a[24:25], v[136:139]// 000000003BD0: D3F30088 1E223198
	v_mfma_f32_16x16x32_fp8_fp8 v[136:139], a[154:155], a[26:27], v[136:139]// 000000003BD8: D3F30088 1E22359A
	v_mfma_f32_16x16x32_fp8_fp8 v[136:139], a[156:157], a[28:29], v[136:139]// 000000003BE0: D3F30088 1E22399C
	v_mfma_f32_16x16x32_fp8_fp8 v[136:139], a[158:159], a[30:31], v[136:139]// 000000003BE8: D3F30088 1E223D9E
	ds_read_b128 a[96:99], v2 offset:20096                     // 000000003BF0: DBFE4E80 60000002
	ds_read_b128 a[100:103], v2 offset:20160                   // 000000003BF8: DBFE4EC0 64000002
	v_mfma_f32_16x16x32_fp8_fp8 v[140:143], a[152:153], a[32:33], v[140:143]// 000000003C00: D3F3008C 1E324198
	v_mfma_f32_16x16x32_fp8_fp8 v[140:143], a[154:155], a[34:35], v[140:143]// 000000003C08: D3F3008C 1E32459A
	v_mfma_f32_16x16x32_fp8_fp8 v[140:143], a[156:157], a[36:37], v[140:143]// 000000003C10: D3F3008C 1E32499C
	v_mfma_f32_16x16x32_fp8_fp8 v[140:143], a[158:159], a[38:39], v[140:143]// 000000003C18: D3F3008C 1E324D9E
	ds_read_b128 a[104:107], v2 offset:20608                   // 000000003C20: DBFE5080 68000002
	ds_read_b128 a[108:111], v2 offset:20672                   // 000000003C28: DBFE50C0 6C000002
	v_mfma_f32_16x16x32_fp8_fp8 v[144:147], a[152:153], a[40:41], v[144:147]// 000000003C30: D3F30090 1E425198
	v_mfma_f32_16x16x32_fp8_fp8 v[144:147], a[154:155], a[42:43], v[144:147]// 000000003C38: D3F30090 1E42559A
	v_mfma_f32_16x16x32_fp8_fp8 v[144:147], a[156:157], a[44:45], v[144:147]// 000000003C40: D3F30090 1E42599C
	v_mfma_f32_16x16x32_fp8_fp8 v[144:147], a[158:159], a[46:47], v[144:147]// 000000003C48: D3F30090 1E425D9E
	ds_read_b128 a[112:115], v2 offset:21120                   // 000000003C50: DBFE5280 70000002
	ds_read_b128 a[116:119], v2 offset:21184                   // 000000003C58: DBFE52C0 74000002
	v_mfma_f32_16x16x32_fp8_fp8 v[148:151], a[152:153], a[48:49], v[148:151]// 000000003C60: D3F30094 1E526198
	v_mfma_f32_16x16x32_fp8_fp8 v[148:151], a[154:155], a[50:51], v[148:151]// 000000003C68: D3F30094 1E52659A
	v_mfma_f32_16x16x32_fp8_fp8 v[148:151], a[156:157], a[52:53], v[148:151]// 000000003C70: D3F30094 1E52699C
	v_mfma_f32_16x16x32_fp8_fp8 v[148:151], a[158:159], a[54:55], v[148:151]// 000000003C78: D3F30094 1E526D9E
	ds_read_b128 a[120:123], v2 offset:21632                   // 000000003C80: DBFE5480 78000002
	ds_read_b128 a[124:127], v2 offset:21696                   // 000000003C88: DBFE54C0 7C000002
	v_mfma_f32_16x16x32_fp8_fp8 v[152:155], a[152:153], a[56:57], v[152:155]// 000000003C90: D3F30098 1E627198
	s_add_u32 s60, 0x180, s80                                  // 000000003C98: 803C50FF 00000180
	s_cmp_lt_u32 s60, s81                                      // 000000003CA0: BF0A513C
	s_cselect_b32 s57, s57, 0                                  // 000000003CA4: 85398039
	v_mfma_f32_16x16x32_fp8_fp8 v[152:155], a[154:155], a[58:59], v[152:155]// 000000003CA8: D3F30098 1E62759A
	s_add_u32 s60, 0x100, s80                                  // 000000003CB0: 803C50FF 00000100
	s_cmp_lt_u32 s60, s81                                      // 000000003CB8: BF0A513C
	s_cselect_b32 s58, s58, 0                                  // 000000003CBC: 853A803A
	v_mfma_f32_16x16x32_fp8_fp8 v[152:155], a[156:157], a[60:61], v[152:155]// 000000003CC0: D3F30098 1E62799C
	s_add_u32 s60, 0x100, s80                                  // 000000003CC8: 803C50FF 00000100
	s_cmp_lt_u32 s60, s81                                      // 000000003CD0: BF0A513C
	s_cselect_b32 s83, s83, 0                                  // 000000003CD4: 85538053
	v_mfma_f32_16x16x32_fp8_fp8 v[152:155], a[158:159], a[62:63], v[152:155]// 000000003CD8: D3F30098 1E627D9E
	ds_read_b128 a[128:131], v2 offset:22144                   // 000000003CE0: DBFE5680 80000002
	ds_read_b128 a[132:135], v2 offset:22208                   // 000000003CE8: DBFE56C0 84000002
	s_add_u32 s24, s58, s24                                    // 000000003CF0: 8018183A
	s_addc_u32 s25, 0, s25                                     // 000000003CF4: 82191980
	v_mfma_f32_16x16x32_fp8_fp8 v[156:159], a[152:153], a[64:65], v[156:159]// 000000003CF8: D3F3009C 1E728198
	s_add_u32 s20, s57, s20                                    // 000000003D00: 80141439
	s_addc_u32 s21, 0, s21                                     // 000000003D04: 82151580
	v_mfma_f32_16x16x32_fp8_fp8 v[156:159], a[154:155], a[66:67], v[156:159]// 000000003D08: D3F3009C 1E72859A
	s_add_u32 s84, s83, s84                                    // 000000003D10: 80545453
	s_addc_u32 s85, 0, s85                                     // 000000003D14: 82555580
	v_mfma_f32_16x16x32_fp8_fp8 v[156:159], a[156:157], a[68:69], v[156:159]// 000000003D18: D3F3009C 1E72899C
	v_mfma_f32_16x16x32_fp8_fp8 v[156:159], a[158:159], a[70:71], v[156:159]// 000000003D20: D3F3009C 1E728D9E
	ds_read_b128 a[136:139], v2 offset:22656                   // 000000003D28: DBFE5880 88000002
	ds_read_b128 a[140:143], v2 offset:22720                   // 000000003D30: DBFE58C0 8C000002
	s_addk_i32 s80, 0x80                                       // 000000003D38: B7500080
	s_cmp_lt_i32 s80, s81                                      // 000000003D3C: BF045150
	s_cbranch_scc0 label_0A59                                  // 000000003D40: BF840588
	s_waitcnt vmcnt(20) lgkmcnt(0)                             // 000000003D44: BF8C4074
	v_mfma_f32_16x16x32_fp8_fp8 v[88:91], a[160:161], a[72:73], v[88:91]// 000000003D48: D3F30058 1D6291A0
	v_mfma_f32_16x16x32_fp8_fp8 v[88:91], a[162:163], a[74:75], v[88:91]// 000000003D50: D3F30058 1D6295A2
	buffer_load_dwordx4 a[152:155], v84, s[24:27], 0 offen     // 000000003D58: E05C1000 80869854
	v_mfma_f32_16x16x32_fp8_fp8 v[88:91], a[164:165], a[76:77], v[88:91]// 000000003D60: D3F30058 1D6299A4
	v_mfma_f32_16x16x32_fp8_fp8 v[88:91], a[166:167], a[78:79], v[88:91]// 000000003D68: D3F30058 1D629DA6
	v_mfma_f32_16x16x32_fp8_fp8 v[92:95], a[160:161], a[80:81], v[92:95]// 000000003D70: D3F3005C 1D72A1A0
	v_mfma_f32_16x16x32_fp8_fp8 v[92:95], a[162:163], a[82:83], v[92:95]// 000000003D78: D3F3005C 1D72A5A2
	buffer_load_dwordx4 a[156:159], v84, s[24:27], 0 offen offset:1024// 000000003D80: E05C1400 80869C54
	buffer_load_dword v66, s[20:23], 0 offen lds               // 000000003D88: E0511000 80050042
	s_add_u32 m0, 0x100, s48                                   // 000000003D90: 807C30FF 00000100
	v_mfma_f32_16x16x32_fp8_fp8 v[92:95], a[164:165], a[84:85], v[92:95]// 000000003D98: D3F3005C 1D72A9A4
	v_mfma_f32_16x16x32_fp8_fp8 v[92:95], a[166:167], a[86:87], v[92:95]// 000000003DA0: D3F3005C 1D72ADA6
	buffer_load_dword v67, s[20:23], 0 offen lds               // 000000003DA8: E0511000 80050043
	s_add_u32 m0, 0x200, s48                                   // 000000003DB0: 807C30FF 00000200
	v_mfma_f32_16x16x32_fp8_fp8 v[96:99], a[160:161], a[88:89], v[96:99]// 000000003DB8: D3F30060 1D82B1A0
	v_mfma_f32_16x16x32_fp8_fp8 v[96:99], a[162:163], a[90:91], v[96:99]// 000000003DC0: D3F30060 1D82B5A2
	buffer_load_dword v68, s[20:23], 0 offen lds               // 000000003DC8: E0511000 80050044
	s_add_u32 m0, 0x300, s48                                   // 000000003DD0: 807C30FF 00000300
	v_mfma_f32_16x16x32_fp8_fp8 v[96:99], a[164:165], a[92:93], v[96:99]// 000000003DD8: D3F30060 1D82B9A4
	v_mfma_f32_16x16x32_fp8_fp8 v[96:99], a[166:167], a[94:95], v[96:99]// 000000003DE0: D3F30060 1D82BDA6
	buffer_load_dword v69, s[20:23], 0 offen lds               // 000000003DE8: E0511000 80050045
	s_add_u32 m0, 0x400, s48                                   // 000000003DF0: 807C30FF 00000400
	v_mfma_f32_16x16x32_fp8_fp8 v[100:103], a[160:161], a[96:97], v[100:103]// 000000003DF8: D3F30064 1D92C1A0
	v_mfma_f32_16x16x32_fp8_fp8 v[100:103], a[162:163], a[98:99], v[100:103]// 000000003E00: D3F30064 1D92C5A2
	buffer_load_dword v70, s[20:23], 0 offen lds               // 000000003E08: E0511000 80050046
	s_add_u32 m0, 0x500, s48                                   // 000000003E10: 807C30FF 00000500
	v_mfma_f32_16x16x32_fp8_fp8 v[100:103], a[164:165], a[100:101], v[100:103]// 000000003E18: D3F30064 1D92C9A4
	v_mfma_f32_16x16x32_fp8_fp8 v[100:103], a[166:167], a[102:103], v[100:103]// 000000003E20: D3F30064 1D92CDA6
	buffer_load_dword v71, s[20:23], 0 offen lds               // 000000003E28: E0511000 80050047
	s_add_u32 m0, 0x600, s48                                   // 000000003E30: 807C30FF 00000600
	v_mfma_f32_16x16x32_fp8_fp8 v[104:107], a[160:161], a[104:105], v[104:107]// 000000003E38: D3F30068 1DA2D1A0
	v_mfma_f32_16x16x32_fp8_fp8 v[104:107], a[162:163], a[106:107], v[104:107]// 000000003E40: D3F30068 1DA2D5A2
	buffer_load_dword v72, s[20:23], 0 offen lds               // 000000003E48: E0511000 80050048
	s_add_u32 m0, 0x700, s48                                   // 000000003E50: 807C30FF 00000700
	v_mfma_f32_16x16x32_fp8_fp8 v[104:107], a[164:165], a[108:109], v[104:107]// 000000003E58: D3F30068 1DA2D9A4
	v_mfma_f32_16x16x32_fp8_fp8 v[104:107], a[166:167], a[110:111], v[104:107]// 000000003E60: D3F30068 1DA2DDA6
	buffer_load_dword v73, s[20:23], 0 offen lds               // 000000003E68: E0511000 80050049
	s_add_u32 m0, 0x800, s48                                   // 000000003E70: 807C30FF 00000800
	v_mfma_f32_16x16x32_fp8_fp8 v[108:111], a[160:161], a[112:113], v[108:111]// 000000003E78: D3F3006C 1DB2E1A0
	v_mfma_f32_16x16x32_fp8_fp8 v[108:111], a[162:163], a[114:115], v[108:111]// 000000003E80: D3F3006C 1DB2E5A2
	buffer_load_dword v74, s[20:23], 0 offen lds               // 000000003E88: E0511000 8005004A
	s_add_u32 m0, 0x900, s48                                   // 000000003E90: 807C30FF 00000900
	v_mfma_f32_16x16x32_fp8_fp8 v[108:111], a[164:165], a[116:117], v[108:111]// 000000003E98: D3F3006C 1DB2E9A4
	v_mfma_f32_16x16x32_fp8_fp8 v[108:111], a[166:167], a[118:119], v[108:111]// 000000003EA0: D3F3006C 1DB2EDA6
	buffer_load_dword v75, s[20:23], 0 offen lds               // 000000003EA8: E0511000 8005004B
	s_add_u32 m0, 0xa00, s48                                   // 000000003EB0: 807C30FF 00000A00
	v_mfma_f32_16x16x32_fp8_fp8 v[112:115], a[160:161], a[120:121], v[112:115]// 000000003EB8: D3F30070 1DC2F1A0
	v_mfma_f32_16x16x32_fp8_fp8 v[112:115], a[162:163], a[122:123], v[112:115]// 000000003EC0: D3F30070 1DC2F5A2
	buffer_load_dword v76, s[20:23], 0 offen lds               // 000000003EC8: E0511000 8005004C
	s_add_u32 m0, 0xb00, s48                                   // 000000003ED0: 807C30FF 00000B00
	v_mfma_f32_16x16x32_fp8_fp8 v[112:115], a[164:165], a[124:125], v[112:115]// 000000003ED8: D3F30070 1DC2F9A4
	v_mfma_f32_16x16x32_fp8_fp8 v[112:115], a[166:167], a[126:127], v[112:115]// 000000003EE0: D3F30070 1DC2FDA6
	buffer_load_dword v77, s[20:23], 0 offen lds               // 000000003EE8: E0511000 8005004D
	s_add_u32 m0, 0xc00, s48                                   // 000000003EF0: 807C30FF 00000C00
	v_mfma_f32_16x16x32_fp8_fp8 v[116:119], a[160:161], a[128:129], v[116:119]// 000000003EF8: D3F30074 1DD301A0
	v_mfma_f32_16x16x32_fp8_fp8 v[116:119], a[162:163], a[130:131], v[116:119]// 000000003F00: D3F30074 1DD305A2
	buffer_load_dword v78, s[20:23], 0 offen lds               // 000000003F08: E0511000 8005004E
	s_add_u32 m0, 0xd00, s48                                   // 000000003F10: 807C30FF 00000D00
	v_mfma_f32_16x16x32_fp8_fp8 v[116:119], a[164:165], a[132:133], v[116:119]// 000000003F18: D3F30074 1DD309A4
	v_mfma_f32_16x16x32_fp8_fp8 v[116:119], a[166:167], a[134:135], v[116:119]// 000000003F20: D3F30074 1DD30DA6
	buffer_load_dword v79, s[20:23], 0 offen lds               // 000000003F28: E0511000 8005004F
	s_add_u32 m0, 0xe00, s48                                   // 000000003F30: 807C30FF 00000E00
	v_mfma_f32_16x16x32_fp8_fp8 v[120:123], a[160:161], a[136:137], v[120:123]// 000000003F38: D3F30078 1DE311A0
	v_mfma_f32_16x16x32_fp8_fp8 v[120:123], a[162:163], a[138:139], v[120:123]// 000000003F40: D3F30078 1DE315A2
	buffer_load_dword v80, s[20:23], 0 offen lds               // 000000003F48: E0511000 80050050
	s_add_u32 m0, 0xf00, s48                                   // 000000003F50: 807C30FF 00000F00
	v_mfma_f32_16x16x32_fp8_fp8 v[120:123], a[164:165], a[140:141], v[120:123]// 000000003F58: D3F30078 1DE319A4
	v_mfma_f32_16x16x32_fp8_fp8 v[120:123], a[166:167], a[142:143], v[120:123]// 000000003F60: D3F30078 1DE31DA6
	buffer_load_dword v81, s[20:23], 0 offen lds               // 000000003F68: E0511000 80050051
	s_add_u32 m0, 0x1000, s48                                  // 000000003F70: 807C30FF 00001000
	buffer_load_dword v82, s[20:23], 0 offen lds               // 000000003F78: E0511000 80050052
	s_add_u32 m0, 0x1100, s48                                  // 000000003F80: 807C30FF 00001100
	buffer_load_dword v83, s[20:23], 0 offen lds               // 000000003F88: E0511000 80050053
	s_add_u32 m0, 0, s49                                       // 000000003F90: 807C3180
	s_waitcnt vmcnt(20)                                        // 000000003F94: BF8C4F74
	s_barrier                                                  // 000000003F98: BF8A0000
	v_mfma_f32_16x16x32_fp8_fp8 v[124:127], a[144:145], a[72:73], v[124:127]// 000000003F9C: D3F3007C 1DF29190
	v_mfma_f32_16x16x32_fp8_fp8 v[124:127], a[146:147], a[74:75], v[124:127]// 000000003FA4: D3F3007C 1DF29592
	buffer_load_dwordx4 a[160:163], v84, s[84:87], 0 offen     // 000000003FAC: E05C1000 8095A054
	v_mfma_f32_16x16x32_fp8_fp8 v[124:127], a[148:149], a[76:77], v[124:127]// 000000003FB4: D3F3007C 1DF29994
	v_mfma_f32_16x16x32_fp8_fp8 v[124:127], a[150:151], a[78:79], v[124:127]// 000000003FBC: D3F3007C 1DF29D96
	ds_read_b128 a[0:3], v2 offset:37120                       // 000000003FC4: DBFE9100 00000002
	ds_read_b128 a[4:7], v2 offset:37184                       // 000000003FCC: DBFE9140 04000002
	v_mfma_f32_16x16x32_fp8_fp8 v[128:131], a[144:145], a[80:81], v[128:131]// 000000003FD4: D3F30080 1E02A190
	v_mfma_f32_16x16x32_fp8_fp8 v[128:131], a[146:147], a[82:83], v[128:131]// 000000003FDC: D3F30080 1E02A592
	buffer_load_dwordx4 a[164:167], v84, s[84:87], 0 offen offset:1024// 000000003FE4: E05C1400 8095A454
	v_mfma_f32_16x16x32_fp8_fp8 v[128:131], a[148:149], a[84:85], v[128:131]// 000000003FEC: D3F30080 1E02A994
	v_mfma_f32_16x16x32_fp8_fp8 v[128:131], a[150:151], a[86:87], v[128:131]// 000000003FF4: D3F30080 1E02AD96
	ds_read_b128 a[8:11], v2 offset:37632                      // 000000003FFC: DBFE9300 08000002
	ds_read_b128 a[12:15], v2 offset:37696                     // 000000004004: DBFE9340 0C000002
	v_mfma_f32_16x16x32_fp8_fp8 v[132:135], a[144:145], a[88:89], v[132:135]// 00000000400C: D3F30084 1E12B190
	v_mfma_f32_16x16x32_fp8_fp8 v[132:135], a[146:147], a[90:91], v[132:135]// 000000004014: D3F30084 1E12B592
	v_mfma_f32_16x16x32_fp8_fp8 v[132:135], a[148:149], a[92:93], v[132:135]// 00000000401C: D3F30084 1E12B994
	v_mfma_f32_16x16x32_fp8_fp8 v[132:135], a[150:151], a[94:95], v[132:135]// 000000004024: D3F30084 1E12BD96
	ds_read_b128 a[16:19], v2 offset:38144                     // 00000000402C: DBFE9500 10000002
	ds_read_b128 a[20:23], v2 offset:38208                     // 000000004034: DBFE9540 14000002
	v_mfma_f32_16x16x32_fp8_fp8 v[136:139], a[144:145], a[96:97], v[136:139]// 00000000403C: D3F30088 1E22C190
	v_mfma_f32_16x16x32_fp8_fp8 v[136:139], a[146:147], a[98:99], v[136:139]// 000000004044: D3F30088 1E22C592
	v_mfma_f32_16x16x32_fp8_fp8 v[136:139], a[148:149], a[100:101], v[136:139]// 00000000404C: D3F30088 1E22C994
	v_mfma_f32_16x16x32_fp8_fp8 v[136:139], a[150:151], a[102:103], v[136:139]// 000000004054: D3F30088 1E22CD96
	ds_read_b128 a[24:27], v2 offset:38656                     // 00000000405C: DBFE9700 18000002
	ds_read_b128 a[28:31], v2 offset:38720                     // 000000004064: DBFE9740 1C000002
	v_mfma_f32_16x16x32_fp8_fp8 v[140:143], a[144:145], a[104:105], v[140:143]// 00000000406C: D3F3008C 1E32D190
	v_mfma_f32_16x16x32_fp8_fp8 v[140:143], a[146:147], a[106:107], v[140:143]// 000000004074: D3F3008C 1E32D592
	v_mfma_f32_16x16x32_fp8_fp8 v[140:143], a[148:149], a[108:109], v[140:143]// 00000000407C: D3F3008C 1E32D994
	v_mfma_f32_16x16x32_fp8_fp8 v[140:143], a[150:151], a[110:111], v[140:143]// 000000004084: D3F3008C 1E32DD96
	ds_read_b128 a[32:35], v2 offset:39168                     // 00000000408C: DBFE9900 20000002
	ds_read_b128 a[36:39], v2 offset:39232                     // 000000004094: DBFE9940 24000002
	v_mfma_f32_16x16x32_fp8_fp8 v[144:147], a[144:145], a[112:113], v[144:147]// 00000000409C: D3F30090 1E42E190
	v_mfma_f32_16x16x32_fp8_fp8 v[144:147], a[146:147], a[114:115], v[144:147]// 0000000040A4: D3F30090 1E42E592
	v_mfma_f32_16x16x32_fp8_fp8 v[144:147], a[148:149], a[116:117], v[144:147]// 0000000040AC: D3F30090 1E42E994
	v_mfma_f32_16x16x32_fp8_fp8 v[144:147], a[150:151], a[118:119], v[144:147]// 0000000040B4: D3F30090 1E42ED96
	ds_read_b128 a[40:43], v2 offset:39680                     // 0000000040BC: DBFE9B00 28000002
	ds_read_b128 a[44:47], v2 offset:39744                     // 0000000040C4: DBFE9B40 2C000002
	v_mfma_f32_16x16x32_fp8_fp8 v[148:151], a[144:145], a[120:121], v[148:151]// 0000000040CC: D3F30094 1E52F190
	v_mfma_f32_16x16x32_fp8_fp8 v[148:151], a[146:147], a[122:123], v[148:151]// 0000000040D4: D3F30094 1E52F592
	v_mfma_f32_16x16x32_fp8_fp8 v[148:151], a[148:149], a[124:125], v[148:151]// 0000000040DC: D3F30094 1E52F994
	v_mfma_f32_16x16x32_fp8_fp8 v[148:151], a[150:151], a[126:127], v[148:151]// 0000000040E4: D3F30094 1E52FD96
	ds_read_b128 a[48:51], v2 offset:40192                     // 0000000040EC: DBFE9D00 30000002
	ds_read_b128 a[52:55], v2 offset:40256                     // 0000000040F4: DBFE9D40 34000002
	v_mfma_f32_16x16x32_fp8_fp8 v[152:155], a[144:145], a[128:129], v[152:155]// 0000000040FC: D3F30098 1E630190
	s_add_u32 s60, 0x180, s80                                  // 000000004104: 803C50FF 00000180
	s_cmp_lt_u32 s60, s81                                      // 00000000410C: BF0A513C
	s_cselect_b32 s57, s57, 0                                  // 000000004110: 85398039
	v_mfma_f32_16x16x32_fp8_fp8 v[152:155], a[146:147], a[130:131], v[152:155]// 000000004114: D3F30098 1E630592
	s_add_u32 s60, 0x100, s80                                  // 00000000411C: 803C50FF 00000100
	s_cmp_lt_u32 s60, s81                                      // 000000004124: BF0A513C
	s_cselect_b32 s58, s58, 0                                  // 000000004128: 853A803A
	v_mfma_f32_16x16x32_fp8_fp8 v[152:155], a[148:149], a[132:133], v[152:155]// 00000000412C: D3F30098 1E630994
	s_add_u32 s60, 0x100, s80                                  // 000000004134: 803C50FF 00000100
	s_cmp_lt_u32 s60, s81                                      // 00000000413C: BF0A513C
	s_cselect_b32 s83, s83, 0                                  // 000000004140: 85538053
	v_mfma_f32_16x16x32_fp8_fp8 v[152:155], a[150:151], a[134:135], v[152:155]// 000000004144: D3F30098 1E630D96
	ds_read_b128 a[56:59], v2 offset:40704                     // 00000000414C: DBFE9F00 38000002
	ds_read_b128 a[60:63], v2 offset:40768                     // 000000004154: DBFE9F40 3C000002
	s_add_u32 s24, s58, s24                                    // 00000000415C: 8018183A
	s_addc_u32 s25, 0, s25                                     // 000000004160: 82191980
	v_mfma_f32_16x16x32_fp8_fp8 v[156:159], a[144:145], a[136:137], v[156:159]// 000000004164: D3F3009C 1E731190
	s_add_u32 s20, s57, s20                                    // 00000000416C: 80141439
	s_addc_u32 s21, 0, s21                                     // 000000004170: 82151580
	v_mfma_f32_16x16x32_fp8_fp8 v[156:159], a[146:147], a[138:139], v[156:159]// 000000004174: D3F3009C 1E731592
	s_add_u32 s84, s83, s84                                    // 00000000417C: 80545453
	s_addc_u32 s85, 0, s85                                     // 000000004180: 82555580
	v_mfma_f32_16x16x32_fp8_fp8 v[156:159], a[148:149], a[140:141], v[156:159]// 000000004184: D3F3009C 1E731994
	v_mfma_f32_16x16x32_fp8_fp8 v[156:159], a[150:151], a[142:143], v[156:159]// 00000000418C: D3F3009C 1E731D96
	ds_read_b128 a[64:67], v2 offset:41216                     // 000000004194: DBFEA100 40000002
	ds_read_b128 a[68:71], v2 offset:41280                     // 00000000419C: DBFEA140 44000002
	s_addk_i32 s80, 0x80                                       // 0000000041A4: B7500080
	s_cmp_lt_i32 s80, s81                                      // 0000000041A8: BF045150
	s_cbranch_scc0 label_0A59                                  // 0000000041AC: BF84046D
	s_waitcnt vmcnt(20) lgkmcnt(0)                             // 0000000041B0: BF8C4074
	v_mfma_f32_16x16x32_fp8_fp8 v[88:91], a[152:153], a[0:1], v[88:91]// 0000000041B4: D3F30058 1D620198
	v_mfma_f32_16x16x32_fp8_fp8 v[88:91], a[154:155], a[2:3], v[88:91]// 0000000041BC: D3F30058 1D62059A
	buffer_load_dwordx4 a[144:147], v84, s[24:27], 0 offen     // 0000000041C4: E05C1000 80869054
	v_mfma_f32_16x16x32_fp8_fp8 v[88:91], a[156:157], a[4:5], v[88:91]// 0000000041CC: D3F30058 1D62099C
	v_mfma_f32_16x16x32_fp8_fp8 v[88:91], a[158:159], a[6:7], v[88:91]// 0000000041D4: D3F30058 1D620D9E
	v_mfma_f32_16x16x32_fp8_fp8 v[92:95], a[152:153], a[8:9], v[92:95]// 0000000041DC: D3F3005C 1D721198
	v_mfma_f32_16x16x32_fp8_fp8 v[92:95], a[154:155], a[10:11], v[92:95]// 0000000041E4: D3F3005C 1D72159A
	buffer_load_dwordx4 a[148:151], v84, s[24:27], 0 offen offset:1024// 0000000041EC: E05C1400 80869454
	buffer_load_dword v66, s[20:23], 0 offen lds               // 0000000041F4: E0511000 80050042
	s_add_u32 m0, 0x100, s49                                   // 0000000041FC: 807C31FF 00000100
	v_mfma_f32_16x16x32_fp8_fp8 v[92:95], a[156:157], a[12:13], v[92:95]// 000000004204: D3F3005C 1D72199C
	v_mfma_f32_16x16x32_fp8_fp8 v[92:95], a[158:159], a[14:15], v[92:95]// 00000000420C: D3F3005C 1D721D9E
	buffer_load_dword v67, s[20:23], 0 offen lds               // 000000004214: E0511000 80050043
	s_add_u32 m0, 0x200, s49                                   // 00000000421C: 807C31FF 00000200
	v_mfma_f32_16x16x32_fp8_fp8 v[96:99], a[152:153], a[16:17], v[96:99]// 000000004224: D3F30060 1D822198
	v_mfma_f32_16x16x32_fp8_fp8 v[96:99], a[154:155], a[18:19], v[96:99]// 00000000422C: D3F30060 1D82259A
	buffer_load_dword v68, s[20:23], 0 offen lds               // 000000004234: E0511000 80050044
	s_add_u32 m0, 0x300, s49                                   // 00000000423C: 807C31FF 00000300
	v_mfma_f32_16x16x32_fp8_fp8 v[96:99], a[156:157], a[20:21], v[96:99]// 000000004244: D3F30060 1D82299C
	v_mfma_f32_16x16x32_fp8_fp8 v[96:99], a[158:159], a[22:23], v[96:99]// 00000000424C: D3F30060 1D822D9E
	buffer_load_dword v69, s[20:23], 0 offen lds               // 000000004254: E0511000 80050045
	s_add_u32 m0, 0x400, s49                                   // 00000000425C: 807C31FF 00000400
	v_mfma_f32_16x16x32_fp8_fp8 v[100:103], a[152:153], a[24:25], v[100:103]// 000000004264: D3F30064 1D923198
	v_mfma_f32_16x16x32_fp8_fp8 v[100:103], a[154:155], a[26:27], v[100:103]// 00000000426C: D3F30064 1D92359A
	buffer_load_dword v70, s[20:23], 0 offen lds               // 000000004274: E0511000 80050046
	s_add_u32 m0, 0x500, s49                                   // 00000000427C: 807C31FF 00000500
	v_mfma_f32_16x16x32_fp8_fp8 v[100:103], a[156:157], a[28:29], v[100:103]// 000000004284: D3F30064 1D92399C
	v_mfma_f32_16x16x32_fp8_fp8 v[100:103], a[158:159], a[30:31], v[100:103]// 00000000428C: D3F30064 1D923D9E
	buffer_load_dword v71, s[20:23], 0 offen lds               // 000000004294: E0511000 80050047
	s_add_u32 m0, 0x600, s49                                   // 00000000429C: 807C31FF 00000600
	v_mfma_f32_16x16x32_fp8_fp8 v[104:107], a[152:153], a[32:33], v[104:107]// 0000000042A4: D3F30068 1DA24198
	v_mfma_f32_16x16x32_fp8_fp8 v[104:107], a[154:155], a[34:35], v[104:107]// 0000000042AC: D3F30068 1DA2459A
	buffer_load_dword v72, s[20:23], 0 offen lds               // 0000000042B4: E0511000 80050048
	s_add_u32 m0, 0x700, s49                                   // 0000000042BC: 807C31FF 00000700
	v_mfma_f32_16x16x32_fp8_fp8 v[104:107], a[156:157], a[36:37], v[104:107]// 0000000042C4: D3F30068 1DA2499C
	v_mfma_f32_16x16x32_fp8_fp8 v[104:107], a[158:159], a[38:39], v[104:107]// 0000000042CC: D3F30068 1DA24D9E
	buffer_load_dword v73, s[20:23], 0 offen lds               // 0000000042D4: E0511000 80050049
	s_add_u32 m0, 0x800, s49                                   // 0000000042DC: 807C31FF 00000800
	v_mfma_f32_16x16x32_fp8_fp8 v[108:111], a[152:153], a[40:41], v[108:111]// 0000000042E4: D3F3006C 1DB25198
	v_mfma_f32_16x16x32_fp8_fp8 v[108:111], a[154:155], a[42:43], v[108:111]// 0000000042EC: D3F3006C 1DB2559A
	buffer_load_dword v74, s[20:23], 0 offen lds               // 0000000042F4: E0511000 8005004A
	s_add_u32 m0, 0x900, s49                                   // 0000000042FC: 807C31FF 00000900
	v_mfma_f32_16x16x32_fp8_fp8 v[108:111], a[156:157], a[44:45], v[108:111]// 000000004304: D3F3006C 1DB2599C
	v_mfma_f32_16x16x32_fp8_fp8 v[108:111], a[158:159], a[46:47], v[108:111]// 00000000430C: D3F3006C 1DB25D9E
	buffer_load_dword v75, s[20:23], 0 offen lds               // 000000004314: E0511000 8005004B
	s_add_u32 m0, 0xa00, s49                                   // 00000000431C: 807C31FF 00000A00
	v_mfma_f32_16x16x32_fp8_fp8 v[112:115], a[152:153], a[48:49], v[112:115]// 000000004324: D3F30070 1DC26198
	v_mfma_f32_16x16x32_fp8_fp8 v[112:115], a[154:155], a[50:51], v[112:115]// 00000000432C: D3F30070 1DC2659A
	buffer_load_dword v76, s[20:23], 0 offen lds               // 000000004334: E0511000 8005004C
	s_add_u32 m0, 0xb00, s49                                   // 00000000433C: 807C31FF 00000B00
	v_mfma_f32_16x16x32_fp8_fp8 v[112:115], a[156:157], a[52:53], v[112:115]// 000000004344: D3F30070 1DC2699C
	v_mfma_f32_16x16x32_fp8_fp8 v[112:115], a[158:159], a[54:55], v[112:115]// 00000000434C: D3F30070 1DC26D9E
	buffer_load_dword v77, s[20:23], 0 offen lds               // 000000004354: E0511000 8005004D
	s_add_u32 m0, 0xc00, s49                                   // 00000000435C: 807C31FF 00000C00
	v_mfma_f32_16x16x32_fp8_fp8 v[116:119], a[152:153], a[56:57], v[116:119]// 000000004364: D3F30074 1DD27198
	v_mfma_f32_16x16x32_fp8_fp8 v[116:119], a[154:155], a[58:59], v[116:119]// 00000000436C: D3F30074 1DD2759A
	buffer_load_dword v78, s[20:23], 0 offen lds               // 000000004374: E0511000 8005004E
	s_add_u32 m0, 0xd00, s49                                   // 00000000437C: 807C31FF 00000D00
	v_mfma_f32_16x16x32_fp8_fp8 v[116:119], a[156:157], a[60:61], v[116:119]// 000000004384: D3F30074 1DD2799C
	v_mfma_f32_16x16x32_fp8_fp8 v[116:119], a[158:159], a[62:63], v[116:119]// 00000000438C: D3F30074 1DD27D9E
	buffer_load_dword v79, s[20:23], 0 offen lds               // 000000004394: E0511000 8005004F
	s_add_u32 m0, 0xe00, s49                                   // 00000000439C: 807C31FF 00000E00
	v_mfma_f32_16x16x32_fp8_fp8 v[120:123], a[152:153], a[64:65], v[120:123]// 0000000043A4: D3F30078 1DE28198
	v_mfma_f32_16x16x32_fp8_fp8 v[120:123], a[154:155], a[66:67], v[120:123]// 0000000043AC: D3F30078 1DE2859A
	buffer_load_dword v80, s[20:23], 0 offen lds               // 0000000043B4: E0511000 80050050
	s_add_u32 m0, 0xf00, s49                                   // 0000000043BC: 807C31FF 00000F00
	v_mfma_f32_16x16x32_fp8_fp8 v[120:123], a[156:157], a[68:69], v[120:123]// 0000000043C4: D3F30078 1DE2899C
	v_mfma_f32_16x16x32_fp8_fp8 v[120:123], a[158:159], a[70:71], v[120:123]// 0000000043CC: D3F30078 1DE28D9E
	buffer_load_dword v81, s[20:23], 0 offen lds               // 0000000043D4: E0511000 80050051
	s_add_u32 m0, 0x1000, s49                                  // 0000000043DC: 807C31FF 00001000
	buffer_load_dword v82, s[20:23], 0 offen lds               // 0000000043E4: E0511000 80050052
	s_add_u32 m0, 0x1100, s49                                  // 0000000043EC: 807C31FF 00001100
	buffer_load_dword v83, s[20:23], 0 offen lds               // 0000000043F4: E0511000 80050053
	s_add_u32 m0, 0, s50                                       // 0000000043FC: 807C3280
	s_waitcnt vmcnt(20)                                        // 000000004400: BF8C4F74
	s_barrier                                                  // 000000004404: BF8A0000
	v_mfma_f32_16x16x32_fp8_fp8 v[124:127], a[160:161], a[0:1], v[124:127]// 000000004408: D3F3007C 1DF201A0
	v_mfma_f32_16x16x32_fp8_fp8 v[124:127], a[162:163], a[2:3], v[124:127]// 000000004410: D3F3007C 1DF205A2
	buffer_load_dwordx4 a[152:155], v84, s[84:87], 0 offen     // 000000004418: E05C1000 80959854
	v_mfma_f32_16x16x32_fp8_fp8 v[124:127], a[164:165], a[4:5], v[124:127]// 000000004420: D3F3007C 1DF209A4
	v_mfma_f32_16x16x32_fp8_fp8 v[124:127], a[166:167], a[6:7], v[124:127]// 000000004428: D3F3007C 1DF20DA6
	ds_read_b128 a[72:75], v2                                  // 000000004430: DBFE0000 48000002
	ds_read_b128 a[76:79], v2 offset:64                        // 000000004438: DBFE0040 4C000002
	v_mfma_f32_16x16x32_fp8_fp8 v[128:131], a[160:161], a[8:9], v[128:131]// 000000004440: D3F30080 1E0211A0
	v_mfma_f32_16x16x32_fp8_fp8 v[128:131], a[162:163], a[10:11], v[128:131]// 000000004448: D3F30080 1E0215A2
	buffer_load_dwordx4 a[156:159], v84, s[84:87], 0 offen offset:1024// 000000004450: E05C1400 80959C54
	v_mfma_f32_16x16x32_fp8_fp8 v[128:131], a[164:165], a[12:13], v[128:131]// 000000004458: D3F30080 1E0219A4
	v_mfma_f32_16x16x32_fp8_fp8 v[128:131], a[166:167], a[14:15], v[128:131]// 000000004460: D3F30080 1E021DA6
	ds_read_b128 a[80:83], v2 offset:512                       // 000000004468: DBFE0200 50000002
	ds_read_b128 a[84:87], v2 offset:576                       // 000000004470: DBFE0240 54000002
	v_mfma_f32_16x16x32_fp8_fp8 v[132:135], a[160:161], a[16:17], v[132:135]// 000000004478: D3F30084 1E1221A0
	v_mfma_f32_16x16x32_fp8_fp8 v[132:135], a[162:163], a[18:19], v[132:135]// 000000004480: D3F30084 1E1225A2
	v_mfma_f32_16x16x32_fp8_fp8 v[132:135], a[164:165], a[20:21], v[132:135]// 000000004488: D3F30084 1E1229A4
	v_mfma_f32_16x16x32_fp8_fp8 v[132:135], a[166:167], a[22:23], v[132:135]// 000000004490: D3F30084 1E122DA6
	ds_read_b128 a[88:91], v2 offset:1024                      // 000000004498: DBFE0400 58000002
	ds_read_b128 a[92:95], v2 offset:1088                      // 0000000044A0: DBFE0440 5C000002
	v_mfma_f32_16x16x32_fp8_fp8 v[136:139], a[160:161], a[24:25], v[136:139]// 0000000044A8: D3F30088 1E2231A0
	v_mfma_f32_16x16x32_fp8_fp8 v[136:139], a[162:163], a[26:27], v[136:139]// 0000000044B0: D3F30088 1E2235A2
	v_mfma_f32_16x16x32_fp8_fp8 v[136:139], a[164:165], a[28:29], v[136:139]// 0000000044B8: D3F30088 1E2239A4
	v_mfma_f32_16x16x32_fp8_fp8 v[136:139], a[166:167], a[30:31], v[136:139]// 0000000044C0: D3F30088 1E223DA6
	ds_read_b128 a[96:99], v2 offset:1536                      // 0000000044C8: DBFE0600 60000002
	ds_read_b128 a[100:103], v2 offset:1600                    // 0000000044D0: DBFE0640 64000002
	v_mfma_f32_16x16x32_fp8_fp8 v[140:143], a[160:161], a[32:33], v[140:143]// 0000000044D8: D3F3008C 1E3241A0
	v_mfma_f32_16x16x32_fp8_fp8 v[140:143], a[162:163], a[34:35], v[140:143]// 0000000044E0: D3F3008C 1E3245A2
	v_mfma_f32_16x16x32_fp8_fp8 v[140:143], a[164:165], a[36:37], v[140:143]// 0000000044E8: D3F3008C 1E3249A4
	v_mfma_f32_16x16x32_fp8_fp8 v[140:143], a[166:167], a[38:39], v[140:143]// 0000000044F0: D3F3008C 1E324DA6
	ds_read_b128 a[104:107], v2 offset:2048                    // 0000000044F8: DBFE0800 68000002
	ds_read_b128 a[108:111], v2 offset:2112                    // 000000004500: DBFE0840 6C000002
	v_mfma_f32_16x16x32_fp8_fp8 v[144:147], a[160:161], a[40:41], v[144:147]// 000000004508: D3F30090 1E4251A0
	v_mfma_f32_16x16x32_fp8_fp8 v[144:147], a[162:163], a[42:43], v[144:147]// 000000004510: D3F30090 1E4255A2
	v_mfma_f32_16x16x32_fp8_fp8 v[144:147], a[164:165], a[44:45], v[144:147]// 000000004518: D3F30090 1E4259A4
	v_mfma_f32_16x16x32_fp8_fp8 v[144:147], a[166:167], a[46:47], v[144:147]// 000000004520: D3F30090 1E425DA6
	ds_read_b128 a[112:115], v2 offset:2560                    // 000000004528: DBFE0A00 70000002
	ds_read_b128 a[116:119], v2 offset:2624                    // 000000004530: DBFE0A40 74000002
	v_mfma_f32_16x16x32_fp8_fp8 v[148:151], a[160:161], a[48:49], v[148:151]// 000000004538: D3F30094 1E5261A0
	v_mfma_f32_16x16x32_fp8_fp8 v[148:151], a[162:163], a[50:51], v[148:151]// 000000004540: D3F30094 1E5265A2
	v_mfma_f32_16x16x32_fp8_fp8 v[148:151], a[164:165], a[52:53], v[148:151]// 000000004548: D3F30094 1E5269A4
	v_mfma_f32_16x16x32_fp8_fp8 v[148:151], a[166:167], a[54:55], v[148:151]// 000000004550: D3F30094 1E526DA6
	ds_read_b128 a[120:123], v2 offset:3072                    // 000000004558: DBFE0C00 78000002
	ds_read_b128 a[124:127], v2 offset:3136                    // 000000004560: DBFE0C40 7C000002
	v_mfma_f32_16x16x32_fp8_fp8 v[152:155], a[160:161], a[56:57], v[152:155]// 000000004568: D3F30098 1E6271A0
	s_add_u32 s60, 0x180, s80                                  // 000000004570: 803C50FF 00000180
	s_cmp_lt_u32 s60, s81                                      // 000000004578: BF0A513C
	s_cselect_b32 s57, s57, 0                                  // 00000000457C: 85398039
	v_mfma_f32_16x16x32_fp8_fp8 v[152:155], a[162:163], a[58:59], v[152:155]// 000000004580: D3F30098 1E6275A2
	s_add_u32 s60, 0x100, s80                                  // 000000004588: 803C50FF 00000100
	s_cmp_lt_u32 s60, s81                                      // 000000004590: BF0A513C
	s_cselect_b32 s58, s58, 0                                  // 000000004594: 853A803A
	v_mfma_f32_16x16x32_fp8_fp8 v[152:155], a[164:165], a[60:61], v[152:155]// 000000004598: D3F30098 1E6279A4
	s_add_u32 s60, 0x100, s80                                  // 0000000045A0: 803C50FF 00000100
	s_cmp_lt_u32 s60, s81                                      // 0000000045A8: BF0A513C
	s_cselect_b32 s83, s83, 0                                  // 0000000045AC: 85538053
	v_mfma_f32_16x16x32_fp8_fp8 v[152:155], a[166:167], a[62:63], v[152:155]// 0000000045B0: D3F30098 1E627DA6
	ds_read_b128 a[128:131], v2 offset:3584                    // 0000000045B8: DBFE0E00 80000002
	ds_read_b128 a[132:135], v2 offset:3648                    // 0000000045C0: DBFE0E40 84000002
	s_add_u32 s24, s58, s24                                    // 0000000045C8: 8018183A
	s_addc_u32 s25, 0, s25                                     // 0000000045CC: 82191980
	v_mfma_f32_16x16x32_fp8_fp8 v[156:159], a[160:161], a[64:65], v[156:159]// 0000000045D0: D3F3009C 1E7281A0
	s_add_u32 s20, s57, s20                                    // 0000000045D8: 80141439
	s_addc_u32 s21, 0, s21                                     // 0000000045DC: 82151580
	v_mfma_f32_16x16x32_fp8_fp8 v[156:159], a[162:163], a[66:67], v[156:159]// 0000000045E0: D3F3009C 1E7285A2
	s_add_u32 s84, s83, s84                                    // 0000000045E8: 80545453
	s_addc_u32 s85, 0, s85                                     // 0000000045EC: 82555580
	v_mfma_f32_16x16x32_fp8_fp8 v[156:159], a[164:165], a[68:69], v[156:159]// 0000000045F0: D3F3009C 1E7289A4
	v_mfma_f32_16x16x32_fp8_fp8 v[156:159], a[166:167], a[70:71], v[156:159]// 0000000045F8: D3F3009C 1E728DA6
	ds_read_b128 a[136:139], v2 offset:4096                    // 000000004600: DBFE1000 88000002
	ds_read_b128 a[140:143], v2 offset:4160                    // 000000004608: DBFE1040 8C000002
	s_addk_i32 s80, 0x80                                       // 000000004610: B7500080
	s_cmp_lt_i32 s80, s81                                      // 000000004614: BF045150
	s_cbranch_scc0 label_0A59                                  // 000000004618: BF840352
	s_waitcnt vmcnt(20) lgkmcnt(0)                             // 00000000461C: BF8C4074
	v_mfma_f32_16x16x32_fp8_fp8 v[88:91], a[144:145], a[72:73], v[88:91]// 000000004620: D3F30058 1D629190
	v_mfma_f32_16x16x32_fp8_fp8 v[88:91], a[146:147], a[74:75], v[88:91]// 000000004628: D3F30058 1D629592
	buffer_load_dwordx4 a[160:163], v84, s[24:27], 0 offen     // 000000004630: E05C1000 8086A054
	v_mfma_f32_16x16x32_fp8_fp8 v[88:91], a[148:149], a[76:77], v[88:91]// 000000004638: D3F30058 1D629994
	v_mfma_f32_16x16x32_fp8_fp8 v[88:91], a[150:151], a[78:79], v[88:91]// 000000004640: D3F30058 1D629D96
	v_mfma_f32_16x16x32_fp8_fp8 v[92:95], a[144:145], a[80:81], v[92:95]// 000000004648: D3F3005C 1D72A190
	v_mfma_f32_16x16x32_fp8_fp8 v[92:95], a[146:147], a[82:83], v[92:95]// 000000004650: D3F3005C 1D72A592
	buffer_load_dwordx4 a[164:167], v84, s[24:27], 0 offen offset:1024// 000000004658: E05C1400 8086A454
	buffer_load_dword v66, s[20:23], 0 offen lds               // 000000004660: E0511000 80050042
	s_add_u32 m0, 0x100, s50                                   // 000000004668: 807C32FF 00000100
	v_mfma_f32_16x16x32_fp8_fp8 v[92:95], a[148:149], a[84:85], v[92:95]// 000000004670: D3F3005C 1D72A994
	v_mfma_f32_16x16x32_fp8_fp8 v[92:95], a[150:151], a[86:87], v[92:95]// 000000004678: D3F3005C 1D72AD96
	buffer_load_dword v67, s[20:23], 0 offen lds               // 000000004680: E0511000 80050043
	s_add_u32 m0, 0x200, s50                                   // 000000004688: 807C32FF 00000200
	v_mfma_f32_16x16x32_fp8_fp8 v[96:99], a[144:145], a[88:89], v[96:99]// 000000004690: D3F30060 1D82B190
	v_mfma_f32_16x16x32_fp8_fp8 v[96:99], a[146:147], a[90:91], v[96:99]// 000000004698: D3F30060 1D82B592
	buffer_load_dword v68, s[20:23], 0 offen lds               // 0000000046A0: E0511000 80050044
	s_add_u32 m0, 0x300, s50                                   // 0000000046A8: 807C32FF 00000300
	v_mfma_f32_16x16x32_fp8_fp8 v[96:99], a[148:149], a[92:93], v[96:99]// 0000000046B0: D3F30060 1D82B994
	v_mfma_f32_16x16x32_fp8_fp8 v[96:99], a[150:151], a[94:95], v[96:99]// 0000000046B8: D3F30060 1D82BD96
	buffer_load_dword v69, s[20:23], 0 offen lds               // 0000000046C0: E0511000 80050045
	s_add_u32 m0, 0x400, s50                                   // 0000000046C8: 807C32FF 00000400
	v_mfma_f32_16x16x32_fp8_fp8 v[100:103], a[144:145], a[96:97], v[100:103]// 0000000046D0: D3F30064 1D92C190
	v_mfma_f32_16x16x32_fp8_fp8 v[100:103], a[146:147], a[98:99], v[100:103]// 0000000046D8: D3F30064 1D92C592
	buffer_load_dword v70, s[20:23], 0 offen lds               // 0000000046E0: E0511000 80050046
	s_add_u32 m0, 0x500, s50                                   // 0000000046E8: 807C32FF 00000500
	v_mfma_f32_16x16x32_fp8_fp8 v[100:103], a[148:149], a[100:101], v[100:103]// 0000000046F0: D3F30064 1D92C994
	v_mfma_f32_16x16x32_fp8_fp8 v[100:103], a[150:151], a[102:103], v[100:103]// 0000000046F8: D3F30064 1D92CD96
	buffer_load_dword v71, s[20:23], 0 offen lds               // 000000004700: E0511000 80050047
	s_add_u32 m0, 0x600, s50                                   // 000000004708: 807C32FF 00000600
	v_mfma_f32_16x16x32_fp8_fp8 v[104:107], a[144:145], a[104:105], v[104:107]// 000000004710: D3F30068 1DA2D190
	v_mfma_f32_16x16x32_fp8_fp8 v[104:107], a[146:147], a[106:107], v[104:107]// 000000004718: D3F30068 1DA2D592
	buffer_load_dword v72, s[20:23], 0 offen lds               // 000000004720: E0511000 80050048
	s_add_u32 m0, 0x700, s50                                   // 000000004728: 807C32FF 00000700
	v_mfma_f32_16x16x32_fp8_fp8 v[104:107], a[148:149], a[108:109], v[104:107]// 000000004730: D3F30068 1DA2D994
	v_mfma_f32_16x16x32_fp8_fp8 v[104:107], a[150:151], a[110:111], v[104:107]// 000000004738: D3F30068 1DA2DD96
	buffer_load_dword v73, s[20:23], 0 offen lds               // 000000004740: E0511000 80050049
	s_add_u32 m0, 0x800, s50                                   // 000000004748: 807C32FF 00000800
	v_mfma_f32_16x16x32_fp8_fp8 v[108:111], a[144:145], a[112:113], v[108:111]// 000000004750: D3F3006C 1DB2E190
	v_mfma_f32_16x16x32_fp8_fp8 v[108:111], a[146:147], a[114:115], v[108:111]// 000000004758: D3F3006C 1DB2E592
	buffer_load_dword v74, s[20:23], 0 offen lds               // 000000004760: E0511000 8005004A
	s_add_u32 m0, 0x900, s50                                   // 000000004768: 807C32FF 00000900
	v_mfma_f32_16x16x32_fp8_fp8 v[108:111], a[148:149], a[116:117], v[108:111]// 000000004770: D3F3006C 1DB2E994
	v_mfma_f32_16x16x32_fp8_fp8 v[108:111], a[150:151], a[118:119], v[108:111]// 000000004778: D3F3006C 1DB2ED96
	buffer_load_dword v75, s[20:23], 0 offen lds               // 000000004780: E0511000 8005004B
	s_add_u32 m0, 0xa00, s50                                   // 000000004788: 807C32FF 00000A00
	v_mfma_f32_16x16x32_fp8_fp8 v[112:115], a[144:145], a[120:121], v[112:115]// 000000004790: D3F30070 1DC2F190
	v_mfma_f32_16x16x32_fp8_fp8 v[112:115], a[146:147], a[122:123], v[112:115]// 000000004798: D3F30070 1DC2F592
	buffer_load_dword v76, s[20:23], 0 offen lds               // 0000000047A0: E0511000 8005004C
	s_add_u32 m0, 0xb00, s50                                   // 0000000047A8: 807C32FF 00000B00
	v_mfma_f32_16x16x32_fp8_fp8 v[112:115], a[148:149], a[124:125], v[112:115]// 0000000047B0: D3F30070 1DC2F994
	v_mfma_f32_16x16x32_fp8_fp8 v[112:115], a[150:151], a[126:127], v[112:115]// 0000000047B8: D3F30070 1DC2FD96
	buffer_load_dword v77, s[20:23], 0 offen lds               // 0000000047C0: E0511000 8005004D
	s_add_u32 m0, 0xc00, s50                                   // 0000000047C8: 807C32FF 00000C00
	v_mfma_f32_16x16x32_fp8_fp8 v[116:119], a[144:145], a[128:129], v[116:119]// 0000000047D0: D3F30074 1DD30190
	v_mfma_f32_16x16x32_fp8_fp8 v[116:119], a[146:147], a[130:131], v[116:119]// 0000000047D8: D3F30074 1DD30592
	buffer_load_dword v78, s[20:23], 0 offen lds               // 0000000047E0: E0511000 8005004E
	s_add_u32 m0, 0xd00, s50                                   // 0000000047E8: 807C32FF 00000D00
	v_mfma_f32_16x16x32_fp8_fp8 v[116:119], a[148:149], a[132:133], v[116:119]// 0000000047F0: D3F30074 1DD30994
	v_mfma_f32_16x16x32_fp8_fp8 v[116:119], a[150:151], a[134:135], v[116:119]// 0000000047F8: D3F30074 1DD30D96
	buffer_load_dword v79, s[20:23], 0 offen lds               // 000000004800: E0511000 8005004F
	s_add_u32 m0, 0xe00, s50                                   // 000000004808: 807C32FF 00000E00
	v_mfma_f32_16x16x32_fp8_fp8 v[120:123], a[144:145], a[136:137], v[120:123]// 000000004810: D3F30078 1DE31190
	v_mfma_f32_16x16x32_fp8_fp8 v[120:123], a[146:147], a[138:139], v[120:123]// 000000004818: D3F30078 1DE31592
	buffer_load_dword v80, s[20:23], 0 offen lds               // 000000004820: E0511000 80050050
	s_add_u32 m0, 0xf00, s50                                   // 000000004828: 807C32FF 00000F00
	v_mfma_f32_16x16x32_fp8_fp8 v[120:123], a[148:149], a[140:141], v[120:123]// 000000004830: D3F30078 1DE31994
	v_mfma_f32_16x16x32_fp8_fp8 v[120:123], a[150:151], a[142:143], v[120:123]// 000000004838: D3F30078 1DE31D96
	buffer_load_dword v81, s[20:23], 0 offen lds               // 000000004840: E0511000 80050051
	s_add_u32 m0, 0x1000, s50                                  // 000000004848: 807C32FF 00001000
	buffer_load_dword v82, s[20:23], 0 offen lds               // 000000004850: E0511000 80050052
	s_add_u32 m0, 0x1100, s50                                  // 000000004858: 807C32FF 00001100
	buffer_load_dword v83, s[20:23], 0 offen lds               // 000000004860: E0511000 80050053
	s_add_u32 m0, 0, s48                                       // 000000004868: 807C3080
	s_waitcnt vmcnt(20)                                        // 00000000486C: BF8C4F74
	s_barrier                                                  // 000000004870: BF8A0000
	v_mfma_f32_16x16x32_fp8_fp8 v[124:127], a[152:153], a[72:73], v[124:127]// 000000004874: D3F3007C 1DF29198
	v_mfma_f32_16x16x32_fp8_fp8 v[124:127], a[154:155], a[74:75], v[124:127]// 00000000487C: D3F3007C 1DF2959A
	buffer_load_dwordx4 a[144:147], v84, s[84:87], 0 offen     // 000000004884: E05C1000 80959054
	v_mfma_f32_16x16x32_fp8_fp8 v[124:127], a[156:157], a[76:77], v[124:127]// 00000000488C: D3F3007C 1DF2999C
	v_mfma_f32_16x16x32_fp8_fp8 v[124:127], a[158:159], a[78:79], v[124:127]// 000000004894: D3F3007C 1DF29D9E
	ds_read_b128 a[0:3], v2 offset:18560                       // 00000000489C: DBFE4880 00000002
	ds_read_b128 a[4:7], v2 offset:18624                       // 0000000048A4: DBFE48C0 04000002
	v_mfma_f32_16x16x32_fp8_fp8 v[128:131], a[152:153], a[80:81], v[128:131]// 0000000048AC: D3F30080 1E02A198
	v_mfma_f32_16x16x32_fp8_fp8 v[128:131], a[154:155], a[82:83], v[128:131]// 0000000048B4: D3F30080 1E02A59A
	buffer_load_dwordx4 a[148:151], v84, s[84:87], 0 offen offset:1024// 0000000048BC: E05C1400 80959454
	v_mfma_f32_16x16x32_fp8_fp8 v[128:131], a[156:157], a[84:85], v[128:131]// 0000000048C4: D3F30080 1E02A99C
	v_mfma_f32_16x16x32_fp8_fp8 v[128:131], a[158:159], a[86:87], v[128:131]// 0000000048CC: D3F30080 1E02AD9E
	ds_read_b128 a[8:11], v2 offset:19072                      // 0000000048D4: DBFE4A80 08000002
	ds_read_b128 a[12:15], v2 offset:19136                     // 0000000048DC: DBFE4AC0 0C000002
	v_mfma_f32_16x16x32_fp8_fp8 v[132:135], a[152:153], a[88:89], v[132:135]// 0000000048E4: D3F30084 1E12B198
	v_mfma_f32_16x16x32_fp8_fp8 v[132:135], a[154:155], a[90:91], v[132:135]// 0000000048EC: D3F30084 1E12B59A
	v_mfma_f32_16x16x32_fp8_fp8 v[132:135], a[156:157], a[92:93], v[132:135]// 0000000048F4: D3F30084 1E12B99C
	v_mfma_f32_16x16x32_fp8_fp8 v[132:135], a[158:159], a[94:95], v[132:135]// 0000000048FC: D3F30084 1E12BD9E
	ds_read_b128 a[16:19], v2 offset:19584                     // 000000004904: DBFE4C80 10000002
	ds_read_b128 a[20:23], v2 offset:19648                     // 00000000490C: DBFE4CC0 14000002
	v_mfma_f32_16x16x32_fp8_fp8 v[136:139], a[152:153], a[96:97], v[136:139]// 000000004914: D3F30088 1E22C198
	v_mfma_f32_16x16x32_fp8_fp8 v[136:139], a[154:155], a[98:99], v[136:139]// 00000000491C: D3F30088 1E22C59A
	v_mfma_f32_16x16x32_fp8_fp8 v[136:139], a[156:157], a[100:101], v[136:139]// 000000004924: D3F30088 1E22C99C
	v_mfma_f32_16x16x32_fp8_fp8 v[136:139], a[158:159], a[102:103], v[136:139]// 00000000492C: D3F30088 1E22CD9E
	ds_read_b128 a[24:27], v2 offset:20096                     // 000000004934: DBFE4E80 18000002
	ds_read_b128 a[28:31], v2 offset:20160                     // 00000000493C: DBFE4EC0 1C000002
	v_mfma_f32_16x16x32_fp8_fp8 v[140:143], a[152:153], a[104:105], v[140:143]// 000000004944: D3F3008C 1E32D198
	v_mfma_f32_16x16x32_fp8_fp8 v[140:143], a[154:155], a[106:107], v[140:143]// 00000000494C: D3F3008C 1E32D59A
	v_mfma_f32_16x16x32_fp8_fp8 v[140:143], a[156:157], a[108:109], v[140:143]// 000000004954: D3F3008C 1E32D99C
	v_mfma_f32_16x16x32_fp8_fp8 v[140:143], a[158:159], a[110:111], v[140:143]// 00000000495C: D3F3008C 1E32DD9E
	ds_read_b128 a[32:35], v2 offset:20608                     // 000000004964: DBFE5080 20000002
	ds_read_b128 a[36:39], v2 offset:20672                     // 00000000496C: DBFE50C0 24000002
	v_mfma_f32_16x16x32_fp8_fp8 v[144:147], a[152:153], a[112:113], v[144:147]// 000000004974: D3F30090 1E42E198
	v_mfma_f32_16x16x32_fp8_fp8 v[144:147], a[154:155], a[114:115], v[144:147]// 00000000497C: D3F30090 1E42E59A
	v_mfma_f32_16x16x32_fp8_fp8 v[144:147], a[156:157], a[116:117], v[144:147]// 000000004984: D3F30090 1E42E99C
	v_mfma_f32_16x16x32_fp8_fp8 v[144:147], a[158:159], a[118:119], v[144:147]// 00000000498C: D3F30090 1E42ED9E
	ds_read_b128 a[40:43], v2 offset:21120                     // 000000004994: DBFE5280 28000002
	ds_read_b128 a[44:47], v2 offset:21184                     // 00000000499C: DBFE52C0 2C000002
	v_mfma_f32_16x16x32_fp8_fp8 v[148:151], a[152:153], a[120:121], v[148:151]// 0000000049A4: D3F30094 1E52F198
	v_mfma_f32_16x16x32_fp8_fp8 v[148:151], a[154:155], a[122:123], v[148:151]// 0000000049AC: D3F30094 1E52F59A
	v_mfma_f32_16x16x32_fp8_fp8 v[148:151], a[156:157], a[124:125], v[148:151]// 0000000049B4: D3F30094 1E52F99C
	v_mfma_f32_16x16x32_fp8_fp8 v[148:151], a[158:159], a[126:127], v[148:151]// 0000000049BC: D3F30094 1E52FD9E
	ds_read_b128 a[48:51], v2 offset:21632                     // 0000000049C4: DBFE5480 30000002
	ds_read_b128 a[52:55], v2 offset:21696                     // 0000000049CC: DBFE54C0 34000002
	v_mfma_f32_16x16x32_fp8_fp8 v[152:155], a[152:153], a[128:129], v[152:155]// 0000000049D4: D3F30098 1E630198
	s_add_u32 s60, 0x180, s80                                  // 0000000049DC: 803C50FF 00000180
	s_cmp_lt_u32 s60, s81                                      // 0000000049E4: BF0A513C
	s_cselect_b32 s57, s57, 0                                  // 0000000049E8: 85398039
	v_mfma_f32_16x16x32_fp8_fp8 v[152:155], a[154:155], a[130:131], v[152:155]// 0000000049EC: D3F30098 1E63059A
	s_add_u32 s60, 0x100, s80                                  // 0000000049F4: 803C50FF 00000100
	s_cmp_lt_u32 s60, s81                                      // 0000000049FC: BF0A513C
	s_cselect_b32 s58, s58, 0                                  // 000000004A00: 853A803A
	v_mfma_f32_16x16x32_fp8_fp8 v[152:155], a[156:157], a[132:133], v[152:155]// 000000004A04: D3F30098 1E63099C
	s_add_u32 s60, 0x100, s80                                  // 000000004A0C: 803C50FF 00000100
	s_cmp_lt_u32 s60, s81                                      // 000000004A14: BF0A513C
	s_cselect_b32 s83, s83, 0                                  // 000000004A18: 85538053
	v_mfma_f32_16x16x32_fp8_fp8 v[152:155], a[158:159], a[134:135], v[152:155]// 000000004A1C: D3F30098 1E630D9E
	ds_read_b128 a[56:59], v2 offset:22144                     // 000000004A24: DBFE5680 38000002
	ds_read_b128 a[60:63], v2 offset:22208                     // 000000004A2C: DBFE56C0 3C000002
	s_add_u32 s24, s58, s24                                    // 000000004A34: 8018183A
	s_addc_u32 s25, 0, s25                                     // 000000004A38: 82191980
	v_mfma_f32_16x16x32_fp8_fp8 v[156:159], a[152:153], a[136:137], v[156:159]// 000000004A3C: D3F3009C 1E731198
	s_add_u32 s20, s57, s20                                    // 000000004A44: 80141439
	s_addc_u32 s21, 0, s21                                     // 000000004A48: 82151580
	v_mfma_f32_16x16x32_fp8_fp8 v[156:159], a[154:155], a[138:139], v[156:159]// 000000004A4C: D3F3009C 1E73159A
	s_add_u32 s84, s83, s84                                    // 000000004A54: 80545453
	s_addc_u32 s85, 0, s85                                     // 000000004A58: 82555580
	v_mfma_f32_16x16x32_fp8_fp8 v[156:159], a[156:157], a[140:141], v[156:159]// 000000004A5C: D3F3009C 1E73199C
	v_mfma_f32_16x16x32_fp8_fp8 v[156:159], a[158:159], a[142:143], v[156:159]// 000000004A64: D3F3009C 1E731D9E
	ds_read_b128 a[64:67], v2 offset:22656                     // 000000004A6C: DBFE5880 40000002
	ds_read_b128 a[68:71], v2 offset:22720                     // 000000004A74: DBFE58C0 44000002
	s_addk_i32 s80, 0x80                                       // 000000004A7C: B7500080
	s_cmp_lt_i32 s80, s81                                      // 000000004A80: BF045150
	s_cbranch_scc0 label_0A59                                  // 000000004A84: BF840237
	s_waitcnt vmcnt(20) lgkmcnt(0)                             // 000000004A88: BF8C4074
	v_mfma_f32_16x16x32_fp8_fp8 v[88:91], a[160:161], a[0:1], v[88:91]// 000000004A8C: D3F30058 1D6201A0
	v_mfma_f32_16x16x32_fp8_fp8 v[88:91], a[162:163], a[2:3], v[88:91]// 000000004A94: D3F30058 1D6205A2
	buffer_load_dwordx4 a[152:155], v84, s[24:27], 0 offen     // 000000004A9C: E05C1000 80869854
	v_mfma_f32_16x16x32_fp8_fp8 v[88:91], a[164:165], a[4:5], v[88:91]// 000000004AA4: D3F30058 1D6209A4
	v_mfma_f32_16x16x32_fp8_fp8 v[88:91], a[166:167], a[6:7], v[88:91]// 000000004AAC: D3F30058 1D620DA6
	v_mfma_f32_16x16x32_fp8_fp8 v[92:95], a[160:161], a[8:9], v[92:95]// 000000004AB4: D3F3005C 1D7211A0
	v_mfma_f32_16x16x32_fp8_fp8 v[92:95], a[162:163], a[10:11], v[92:95]// 000000004ABC: D3F3005C 1D7215A2
	buffer_load_dwordx4 a[156:159], v84, s[24:27], 0 offen offset:1024// 000000004AC4: E05C1400 80869C54
	buffer_load_dword v66, s[20:23], 0 offen lds               // 000000004ACC: E0511000 80050042
	s_add_u32 m0, 0x100, s48                                   // 000000004AD4: 807C30FF 00000100
	v_mfma_f32_16x16x32_fp8_fp8 v[92:95], a[164:165], a[12:13], v[92:95]// 000000004ADC: D3F3005C 1D7219A4
	v_mfma_f32_16x16x32_fp8_fp8 v[92:95], a[166:167], a[14:15], v[92:95]// 000000004AE4: D3F3005C 1D721DA6
	buffer_load_dword v67, s[20:23], 0 offen lds               // 000000004AEC: E0511000 80050043
	s_add_u32 m0, 0x200, s48                                   // 000000004AF4: 807C30FF 00000200
	v_mfma_f32_16x16x32_fp8_fp8 v[96:99], a[160:161], a[16:17], v[96:99]// 000000004AFC: D3F30060 1D8221A0
	v_mfma_f32_16x16x32_fp8_fp8 v[96:99], a[162:163], a[18:19], v[96:99]// 000000004B04: D3F30060 1D8225A2
	buffer_load_dword v68, s[20:23], 0 offen lds               // 000000004B0C: E0511000 80050044
	s_add_u32 m0, 0x300, s48                                   // 000000004B14: 807C30FF 00000300
	v_mfma_f32_16x16x32_fp8_fp8 v[96:99], a[164:165], a[20:21], v[96:99]// 000000004B1C: D3F30060 1D8229A4
	v_mfma_f32_16x16x32_fp8_fp8 v[96:99], a[166:167], a[22:23], v[96:99]// 000000004B24: D3F30060 1D822DA6
	buffer_load_dword v69, s[20:23], 0 offen lds               // 000000004B2C: E0511000 80050045
	s_add_u32 m0, 0x400, s48                                   // 000000004B34: 807C30FF 00000400
	v_mfma_f32_16x16x32_fp8_fp8 v[100:103], a[160:161], a[24:25], v[100:103]// 000000004B3C: D3F30064 1D9231A0
	v_mfma_f32_16x16x32_fp8_fp8 v[100:103], a[162:163], a[26:27], v[100:103]// 000000004B44: D3F30064 1D9235A2
	buffer_load_dword v70, s[20:23], 0 offen lds               // 000000004B4C: E0511000 80050046
	s_add_u32 m0, 0x500, s48                                   // 000000004B54: 807C30FF 00000500
	v_mfma_f32_16x16x32_fp8_fp8 v[100:103], a[164:165], a[28:29], v[100:103]// 000000004B5C: D3F30064 1D9239A4
	v_mfma_f32_16x16x32_fp8_fp8 v[100:103], a[166:167], a[30:31], v[100:103]// 000000004B64: D3F30064 1D923DA6
	buffer_load_dword v71, s[20:23], 0 offen lds               // 000000004B6C: E0511000 80050047
	s_add_u32 m0, 0x600, s48                                   // 000000004B74: 807C30FF 00000600
	v_mfma_f32_16x16x32_fp8_fp8 v[104:107], a[160:161], a[32:33], v[104:107]// 000000004B7C: D3F30068 1DA241A0
	v_mfma_f32_16x16x32_fp8_fp8 v[104:107], a[162:163], a[34:35], v[104:107]// 000000004B84: D3F30068 1DA245A2
	buffer_load_dword v72, s[20:23], 0 offen lds               // 000000004B8C: E0511000 80050048
	s_add_u32 m0, 0x700, s48                                   // 000000004B94: 807C30FF 00000700
	v_mfma_f32_16x16x32_fp8_fp8 v[104:107], a[164:165], a[36:37], v[104:107]// 000000004B9C: D3F30068 1DA249A4
	v_mfma_f32_16x16x32_fp8_fp8 v[104:107], a[166:167], a[38:39], v[104:107]// 000000004BA4: D3F30068 1DA24DA6
	buffer_load_dword v73, s[20:23], 0 offen lds               // 000000004BAC: E0511000 80050049
	s_add_u32 m0, 0x800, s48                                   // 000000004BB4: 807C30FF 00000800
	v_mfma_f32_16x16x32_fp8_fp8 v[108:111], a[160:161], a[40:41], v[108:111]// 000000004BBC: D3F3006C 1DB251A0
	v_mfma_f32_16x16x32_fp8_fp8 v[108:111], a[162:163], a[42:43], v[108:111]// 000000004BC4: D3F3006C 1DB255A2
	buffer_load_dword v74, s[20:23], 0 offen lds               // 000000004BCC: E0511000 8005004A
	s_add_u32 m0, 0x900, s48                                   // 000000004BD4: 807C30FF 00000900
	v_mfma_f32_16x16x32_fp8_fp8 v[108:111], a[164:165], a[44:45], v[108:111]// 000000004BDC: D3F3006C 1DB259A4
	v_mfma_f32_16x16x32_fp8_fp8 v[108:111], a[166:167], a[46:47], v[108:111]// 000000004BE4: D3F3006C 1DB25DA6
	buffer_load_dword v75, s[20:23], 0 offen lds               // 000000004BEC: E0511000 8005004B
	s_add_u32 m0, 0xa00, s48                                   // 000000004BF4: 807C30FF 00000A00
	v_mfma_f32_16x16x32_fp8_fp8 v[112:115], a[160:161], a[48:49], v[112:115]// 000000004BFC: D3F30070 1DC261A0
	v_mfma_f32_16x16x32_fp8_fp8 v[112:115], a[162:163], a[50:51], v[112:115]// 000000004C04: D3F30070 1DC265A2
	buffer_load_dword v76, s[20:23], 0 offen lds               // 000000004C0C: E0511000 8005004C
	s_add_u32 m0, 0xb00, s48                                   // 000000004C14: 807C30FF 00000B00
	v_mfma_f32_16x16x32_fp8_fp8 v[112:115], a[164:165], a[52:53], v[112:115]// 000000004C1C: D3F30070 1DC269A4
	v_mfma_f32_16x16x32_fp8_fp8 v[112:115], a[166:167], a[54:55], v[112:115]// 000000004C24: D3F30070 1DC26DA6
	buffer_load_dword v77, s[20:23], 0 offen lds               // 000000004C2C: E0511000 8005004D
	s_add_u32 m0, 0xc00, s48                                   // 000000004C34: 807C30FF 00000C00
	v_mfma_f32_16x16x32_fp8_fp8 v[116:119], a[160:161], a[56:57], v[116:119]// 000000004C3C: D3F30074 1DD271A0
	v_mfma_f32_16x16x32_fp8_fp8 v[116:119], a[162:163], a[58:59], v[116:119]// 000000004C44: D3F30074 1DD275A2
	buffer_load_dword v78, s[20:23], 0 offen lds               // 000000004C4C: E0511000 8005004E
	s_add_u32 m0, 0xd00, s48                                   // 000000004C54: 807C30FF 00000D00
	v_mfma_f32_16x16x32_fp8_fp8 v[116:119], a[164:165], a[60:61], v[116:119]// 000000004C5C: D3F30074 1DD279A4
	v_mfma_f32_16x16x32_fp8_fp8 v[116:119], a[166:167], a[62:63], v[116:119]// 000000004C64: D3F30074 1DD27DA6
	buffer_load_dword v79, s[20:23], 0 offen lds               // 000000004C6C: E0511000 8005004F
	s_add_u32 m0, 0xe00, s48                                   // 000000004C74: 807C30FF 00000E00
	v_mfma_f32_16x16x32_fp8_fp8 v[120:123], a[160:161], a[64:65], v[120:123]// 000000004C7C: D3F30078 1DE281A0
	v_mfma_f32_16x16x32_fp8_fp8 v[120:123], a[162:163], a[66:67], v[120:123]// 000000004C84: D3F30078 1DE285A2
	buffer_load_dword v80, s[20:23], 0 offen lds               // 000000004C8C: E0511000 80050050
	s_add_u32 m0, 0xf00, s48                                   // 000000004C94: 807C30FF 00000F00
	v_mfma_f32_16x16x32_fp8_fp8 v[120:123], a[164:165], a[68:69], v[120:123]// 000000004C9C: D3F30078 1DE289A4
	v_mfma_f32_16x16x32_fp8_fp8 v[120:123], a[166:167], a[70:71], v[120:123]// 000000004CA4: D3F30078 1DE28DA6
	buffer_load_dword v81, s[20:23], 0 offen lds               // 000000004CAC: E0511000 80050051
	s_add_u32 m0, 0x1000, s48                                  // 000000004CB4: 807C30FF 00001000
	buffer_load_dword v82, s[20:23], 0 offen lds               // 000000004CBC: E0511000 80050052
	s_add_u32 m0, 0x1100, s48                                  // 000000004CC4: 807C30FF 00001100
	buffer_load_dword v83, s[20:23], 0 offen lds               // 000000004CCC: E0511000 80050053
	s_add_u32 m0, 0, s49                                       // 000000004CD4: 807C3180
	s_waitcnt vmcnt(20)                                        // 000000004CD8: BF8C4F74
	s_barrier                                                  // 000000004CDC: BF8A0000
	v_mfma_f32_16x16x32_fp8_fp8 v[124:127], a[144:145], a[0:1], v[124:127]// 000000004CE0: D3F3007C 1DF20190
	v_mfma_f32_16x16x32_fp8_fp8 v[124:127], a[146:147], a[2:3], v[124:127]// 000000004CE8: D3F3007C 1DF20592
	buffer_load_dwordx4 a[160:163], v84, s[84:87], 0 offen     // 000000004CF0: E05C1000 8095A054
	v_mfma_f32_16x16x32_fp8_fp8 v[124:127], a[148:149], a[4:5], v[124:127]// 000000004CF8: D3F3007C 1DF20994
	v_mfma_f32_16x16x32_fp8_fp8 v[124:127], a[150:151], a[6:7], v[124:127]// 000000004D00: D3F3007C 1DF20D96
	ds_read_b128 a[72:75], v2 offset:37120                     // 000000004D08: DBFE9100 48000002
	ds_read_b128 a[76:79], v2 offset:37184                     // 000000004D10: DBFE9140 4C000002
	v_mfma_f32_16x16x32_fp8_fp8 v[128:131], a[144:145], a[8:9], v[128:131]// 000000004D18: D3F30080 1E021190
	v_mfma_f32_16x16x32_fp8_fp8 v[128:131], a[146:147], a[10:11], v[128:131]// 000000004D20: D3F30080 1E021592
	buffer_load_dwordx4 a[164:167], v84, s[84:87], 0 offen offset:1024// 000000004D28: E05C1400 8095A454
	v_mfma_f32_16x16x32_fp8_fp8 v[128:131], a[148:149], a[12:13], v[128:131]// 000000004D30: D3F30080 1E021994
	v_mfma_f32_16x16x32_fp8_fp8 v[128:131], a[150:151], a[14:15], v[128:131]// 000000004D38: D3F30080 1E021D96
	ds_read_b128 a[80:83], v2 offset:37632                     // 000000004D40: DBFE9300 50000002
	ds_read_b128 a[84:87], v2 offset:37696                     // 000000004D48: DBFE9340 54000002
	v_mfma_f32_16x16x32_fp8_fp8 v[132:135], a[144:145], a[16:17], v[132:135]// 000000004D50: D3F30084 1E122190
	v_mfma_f32_16x16x32_fp8_fp8 v[132:135], a[146:147], a[18:19], v[132:135]// 000000004D58: D3F30084 1E122592
	v_mfma_f32_16x16x32_fp8_fp8 v[132:135], a[148:149], a[20:21], v[132:135]// 000000004D60: D3F30084 1E122994
	v_mfma_f32_16x16x32_fp8_fp8 v[132:135], a[150:151], a[22:23], v[132:135]// 000000004D68: D3F30084 1E122D96
	ds_read_b128 a[88:91], v2 offset:38144                     // 000000004D70: DBFE9500 58000002
	ds_read_b128 a[92:95], v2 offset:38208                     // 000000004D78: DBFE9540 5C000002
	v_mfma_f32_16x16x32_fp8_fp8 v[136:139], a[144:145], a[24:25], v[136:139]// 000000004D80: D3F30088 1E223190
	v_mfma_f32_16x16x32_fp8_fp8 v[136:139], a[146:147], a[26:27], v[136:139]// 000000004D88: D3F30088 1E223592
	v_mfma_f32_16x16x32_fp8_fp8 v[136:139], a[148:149], a[28:29], v[136:139]// 000000004D90: D3F30088 1E223994
	v_mfma_f32_16x16x32_fp8_fp8 v[136:139], a[150:151], a[30:31], v[136:139]// 000000004D98: D3F30088 1E223D96
	ds_read_b128 a[96:99], v2 offset:38656                     // 000000004DA0: DBFE9700 60000002
	ds_read_b128 a[100:103], v2 offset:38720                   // 000000004DA8: DBFE9740 64000002
	v_mfma_f32_16x16x32_fp8_fp8 v[140:143], a[144:145], a[32:33], v[140:143]// 000000004DB0: D3F3008C 1E324190
	v_mfma_f32_16x16x32_fp8_fp8 v[140:143], a[146:147], a[34:35], v[140:143]// 000000004DB8: D3F3008C 1E324592
	v_mfma_f32_16x16x32_fp8_fp8 v[140:143], a[148:149], a[36:37], v[140:143]// 000000004DC0: D3F3008C 1E324994
	v_mfma_f32_16x16x32_fp8_fp8 v[140:143], a[150:151], a[38:39], v[140:143]// 000000004DC8: D3F3008C 1E324D96
	ds_read_b128 a[104:107], v2 offset:39168                   // 000000004DD0: DBFE9900 68000002
	ds_read_b128 a[108:111], v2 offset:39232                   // 000000004DD8: DBFE9940 6C000002
	v_mfma_f32_16x16x32_fp8_fp8 v[144:147], a[144:145], a[40:41], v[144:147]// 000000004DE0: D3F30090 1E425190
	v_mfma_f32_16x16x32_fp8_fp8 v[144:147], a[146:147], a[42:43], v[144:147]// 000000004DE8: D3F30090 1E425592
	v_mfma_f32_16x16x32_fp8_fp8 v[144:147], a[148:149], a[44:45], v[144:147]// 000000004DF0: D3F30090 1E425994
	v_mfma_f32_16x16x32_fp8_fp8 v[144:147], a[150:151], a[46:47], v[144:147]// 000000004DF8: D3F30090 1E425D96
	ds_read_b128 a[112:115], v2 offset:39680                   // 000000004E00: DBFE9B00 70000002
	ds_read_b128 a[116:119], v2 offset:39744                   // 000000004E08: DBFE9B40 74000002
	v_mfma_f32_16x16x32_fp8_fp8 v[148:151], a[144:145], a[48:49], v[148:151]// 000000004E10: D3F30094 1E526190
	v_mfma_f32_16x16x32_fp8_fp8 v[148:151], a[146:147], a[50:51], v[148:151]// 000000004E18: D3F30094 1E526592
	v_mfma_f32_16x16x32_fp8_fp8 v[148:151], a[148:149], a[52:53], v[148:151]// 000000004E20: D3F30094 1E526994
	v_mfma_f32_16x16x32_fp8_fp8 v[148:151], a[150:151], a[54:55], v[148:151]// 000000004E28: D3F30094 1E526D96
	ds_read_b128 a[120:123], v2 offset:40192                   // 000000004E30: DBFE9D00 78000002
	ds_read_b128 a[124:127], v2 offset:40256                   // 000000004E38: DBFE9D40 7C000002
	v_mfma_f32_16x16x32_fp8_fp8 v[152:155], a[144:145], a[56:57], v[152:155]// 000000004E40: D3F30098 1E627190
	s_add_u32 s60, 0x180, s80                                  // 000000004E48: 803C50FF 00000180
	s_cmp_lt_u32 s60, s81                                      // 000000004E50: BF0A513C
	s_cselect_b32 s57, s57, 0                                  // 000000004E54: 85398039
	v_mfma_f32_16x16x32_fp8_fp8 v[152:155], a[146:147], a[58:59], v[152:155]// 000000004E58: D3F30098 1E627592
	s_add_u32 s60, 0x100, s80                                  // 000000004E60: 803C50FF 00000100
	s_cmp_lt_u32 s60, s81                                      // 000000004E68: BF0A513C
	s_cselect_b32 s58, s58, 0                                  // 000000004E6C: 853A803A
	v_mfma_f32_16x16x32_fp8_fp8 v[152:155], a[148:149], a[60:61], v[152:155]// 000000004E70: D3F30098 1E627994
	s_add_u32 s60, 0x100, s80                                  // 000000004E78: 803C50FF 00000100
	s_cmp_lt_u32 s60, s81                                      // 000000004E80: BF0A513C
	s_cselect_b32 s83, s83, 0                                  // 000000004E84: 85538053
	v_mfma_f32_16x16x32_fp8_fp8 v[152:155], a[150:151], a[62:63], v[152:155]// 000000004E88: D3F30098 1E627D96
	ds_read_b128 a[128:131], v2 offset:40704                   // 000000004E90: DBFE9F00 80000002
	ds_read_b128 a[132:135], v2 offset:40768                   // 000000004E98: DBFE9F40 84000002
	s_add_u32 s24, s58, s24                                    // 000000004EA0: 8018183A
	s_addc_u32 s25, 0, s25                                     // 000000004EA4: 82191980
	v_mfma_f32_16x16x32_fp8_fp8 v[156:159], a[144:145], a[64:65], v[156:159]// 000000004EA8: D3F3009C 1E728190
	s_add_u32 s20, s57, s20                                    // 000000004EB0: 80141439
	s_addc_u32 s21, 0, s21                                     // 000000004EB4: 82151580
	v_mfma_f32_16x16x32_fp8_fp8 v[156:159], a[146:147], a[66:67], v[156:159]// 000000004EB8: D3F3009C 1E728592
	s_add_u32 s84, s83, s84                                    // 000000004EC0: 80545453
	s_addc_u32 s85, 0, s85                                     // 000000004EC4: 82555580
	v_mfma_f32_16x16x32_fp8_fp8 v[156:159], a[148:149], a[68:69], v[156:159]// 000000004EC8: D3F3009C 1E728994
	v_mfma_f32_16x16x32_fp8_fp8 v[156:159], a[150:151], a[70:71], v[156:159]// 000000004ED0: D3F3009C 1E728D96
	ds_read_b128 a[136:139], v2 offset:41216                   // 000000004ED8: DBFEA100 88000002
	ds_read_b128 a[140:143], v2 offset:41280                   // 000000004EE0: DBFEA140 8C000002
	s_addk_i32 s80, 0x80                                       // 000000004EE8: B7500080
	s_cmp_lt_i32 s80, s81                                      // 000000004EEC: BF045150
	s_cbranch_scc0 label_0A59                                  // 000000004EF0: BF84011C
	s_waitcnt vmcnt(20) lgkmcnt(0)                             // 000000004EF4: BF8C4074
	v_mfma_f32_16x16x32_fp8_fp8 v[88:91], a[152:153], a[72:73], v[88:91]// 000000004EF8: D3F30058 1D629198
	v_mfma_f32_16x16x32_fp8_fp8 v[88:91], a[154:155], a[74:75], v[88:91]// 000000004F00: D3F30058 1D62959A
	buffer_load_dwordx4 a[144:147], v84, s[24:27], 0 offen     // 000000004F08: E05C1000 80869054
	v_mfma_f32_16x16x32_fp8_fp8 v[88:91], a[156:157], a[76:77], v[88:91]// 000000004F10: D3F30058 1D62999C
	v_mfma_f32_16x16x32_fp8_fp8 v[88:91], a[158:159], a[78:79], v[88:91]// 000000004F18: D3F30058 1D629D9E
	v_mfma_f32_16x16x32_fp8_fp8 v[92:95], a[152:153], a[80:81], v[92:95]// 000000004F20: D3F3005C 1D72A198
	v_mfma_f32_16x16x32_fp8_fp8 v[92:95], a[154:155], a[82:83], v[92:95]// 000000004F28: D3F3005C 1D72A59A
	buffer_load_dwordx4 a[148:151], v84, s[24:27], 0 offen offset:1024// 000000004F30: E05C1400 80869454
	buffer_load_dword v66, s[20:23], 0 offen lds               // 000000004F38: E0511000 80050042
	s_add_u32 m0, 0x100, s49                                   // 000000004F40: 807C31FF 00000100
	v_mfma_f32_16x16x32_fp8_fp8 v[92:95], a[156:157], a[84:85], v[92:95]// 000000004F48: D3F3005C 1D72A99C
	v_mfma_f32_16x16x32_fp8_fp8 v[92:95], a[158:159], a[86:87], v[92:95]// 000000004F50: D3F3005C 1D72AD9E
	buffer_load_dword v67, s[20:23], 0 offen lds               // 000000004F58: E0511000 80050043
	s_add_u32 m0, 0x200, s49                                   // 000000004F60: 807C31FF 00000200
	v_mfma_f32_16x16x32_fp8_fp8 v[96:99], a[152:153], a[88:89], v[96:99]// 000000004F68: D3F30060 1D82B198
	v_mfma_f32_16x16x32_fp8_fp8 v[96:99], a[154:155], a[90:91], v[96:99]// 000000004F70: D3F30060 1D82B59A
	buffer_load_dword v68, s[20:23], 0 offen lds               // 000000004F78: E0511000 80050044
	s_add_u32 m0, 0x300, s49                                   // 000000004F80: 807C31FF 00000300
	v_mfma_f32_16x16x32_fp8_fp8 v[96:99], a[156:157], a[92:93], v[96:99]// 000000004F88: D3F30060 1D82B99C
	v_mfma_f32_16x16x32_fp8_fp8 v[96:99], a[158:159], a[94:95], v[96:99]// 000000004F90: D3F30060 1D82BD9E
	buffer_load_dword v69, s[20:23], 0 offen lds               // 000000004F98: E0511000 80050045
	s_add_u32 m0, 0x400, s49                                   // 000000004FA0: 807C31FF 00000400
	v_mfma_f32_16x16x32_fp8_fp8 v[100:103], a[152:153], a[96:97], v[100:103]// 000000004FA8: D3F30064 1D92C198
	v_mfma_f32_16x16x32_fp8_fp8 v[100:103], a[154:155], a[98:99], v[100:103]// 000000004FB0: D3F30064 1D92C59A
	buffer_load_dword v70, s[20:23], 0 offen lds               // 000000004FB8: E0511000 80050046
	s_add_u32 m0, 0x500, s49                                   // 000000004FC0: 807C31FF 00000500
	v_mfma_f32_16x16x32_fp8_fp8 v[100:103], a[156:157], a[100:101], v[100:103]// 000000004FC8: D3F30064 1D92C99C
	v_mfma_f32_16x16x32_fp8_fp8 v[100:103], a[158:159], a[102:103], v[100:103]// 000000004FD0: D3F30064 1D92CD9E
	buffer_load_dword v71, s[20:23], 0 offen lds               // 000000004FD8: E0511000 80050047
	s_add_u32 m0, 0x600, s49                                   // 000000004FE0: 807C31FF 00000600
	v_mfma_f32_16x16x32_fp8_fp8 v[104:107], a[152:153], a[104:105], v[104:107]// 000000004FE8: D3F30068 1DA2D198
	v_mfma_f32_16x16x32_fp8_fp8 v[104:107], a[154:155], a[106:107], v[104:107]// 000000004FF0: D3F30068 1DA2D59A
	buffer_load_dword v72, s[20:23], 0 offen lds               // 000000004FF8: E0511000 80050048
	s_add_u32 m0, 0x700, s49                                   // 000000005000: 807C31FF 00000700
	v_mfma_f32_16x16x32_fp8_fp8 v[104:107], a[156:157], a[108:109], v[104:107]// 000000005008: D3F30068 1DA2D99C
	v_mfma_f32_16x16x32_fp8_fp8 v[104:107], a[158:159], a[110:111], v[104:107]// 000000005010: D3F30068 1DA2DD9E
	buffer_load_dword v73, s[20:23], 0 offen lds               // 000000005018: E0511000 80050049
	s_add_u32 m0, 0x800, s49                                   // 000000005020: 807C31FF 00000800
	v_mfma_f32_16x16x32_fp8_fp8 v[108:111], a[152:153], a[112:113], v[108:111]// 000000005028: D3F3006C 1DB2E198
	v_mfma_f32_16x16x32_fp8_fp8 v[108:111], a[154:155], a[114:115], v[108:111]// 000000005030: D3F3006C 1DB2E59A
	buffer_load_dword v74, s[20:23], 0 offen lds               // 000000005038: E0511000 8005004A
	s_add_u32 m0, 0x900, s49                                   // 000000005040: 807C31FF 00000900
	v_mfma_f32_16x16x32_fp8_fp8 v[108:111], a[156:157], a[116:117], v[108:111]// 000000005048: D3F3006C 1DB2E99C
	v_mfma_f32_16x16x32_fp8_fp8 v[108:111], a[158:159], a[118:119], v[108:111]// 000000005050: D3F3006C 1DB2ED9E
	buffer_load_dword v75, s[20:23], 0 offen lds               // 000000005058: E0511000 8005004B
	s_add_u32 m0, 0xa00, s49                                   // 000000005060: 807C31FF 00000A00
	v_mfma_f32_16x16x32_fp8_fp8 v[112:115], a[152:153], a[120:121], v[112:115]// 000000005068: D3F30070 1DC2F198
	v_mfma_f32_16x16x32_fp8_fp8 v[112:115], a[154:155], a[122:123], v[112:115]// 000000005070: D3F30070 1DC2F59A
	buffer_load_dword v76, s[20:23], 0 offen lds               // 000000005078: E0511000 8005004C
	s_add_u32 m0, 0xb00, s49                                   // 000000005080: 807C31FF 00000B00
	v_mfma_f32_16x16x32_fp8_fp8 v[112:115], a[156:157], a[124:125], v[112:115]// 000000005088: D3F30070 1DC2F99C
	v_mfma_f32_16x16x32_fp8_fp8 v[112:115], a[158:159], a[126:127], v[112:115]// 000000005090: D3F30070 1DC2FD9E
	buffer_load_dword v77, s[20:23], 0 offen lds               // 000000005098: E0511000 8005004D
	s_add_u32 m0, 0xc00, s49                                   // 0000000050A0: 807C31FF 00000C00
	v_mfma_f32_16x16x32_fp8_fp8 v[116:119], a[152:153], a[128:129], v[116:119]// 0000000050A8: D3F30074 1DD30198
	v_mfma_f32_16x16x32_fp8_fp8 v[116:119], a[154:155], a[130:131], v[116:119]// 0000000050B0: D3F30074 1DD3059A
	buffer_load_dword v78, s[20:23], 0 offen lds               // 0000000050B8: E0511000 8005004E
	s_add_u32 m0, 0xd00, s49                                   // 0000000050C0: 807C31FF 00000D00
	v_mfma_f32_16x16x32_fp8_fp8 v[116:119], a[156:157], a[132:133], v[116:119]// 0000000050C8: D3F30074 1DD3099C
	v_mfma_f32_16x16x32_fp8_fp8 v[116:119], a[158:159], a[134:135], v[116:119]// 0000000050D0: D3F30074 1DD30D9E
	buffer_load_dword v79, s[20:23], 0 offen lds               // 0000000050D8: E0511000 8005004F
	s_add_u32 m0, 0xe00, s49                                   // 0000000050E0: 807C31FF 00000E00
	v_mfma_f32_16x16x32_fp8_fp8 v[120:123], a[152:153], a[136:137], v[120:123]// 0000000050E8: D3F30078 1DE31198
	v_mfma_f32_16x16x32_fp8_fp8 v[120:123], a[154:155], a[138:139], v[120:123]// 0000000050F0: D3F30078 1DE3159A
	buffer_load_dword v80, s[20:23], 0 offen lds               // 0000000050F8: E0511000 80050050
	s_add_u32 m0, 0xf00, s49                                   // 000000005100: 807C31FF 00000F00
	v_mfma_f32_16x16x32_fp8_fp8 v[120:123], a[156:157], a[140:141], v[120:123]// 000000005108: D3F30078 1DE3199C
	v_mfma_f32_16x16x32_fp8_fp8 v[120:123], a[158:159], a[142:143], v[120:123]// 000000005110: D3F30078 1DE31D9E
	buffer_load_dword v81, s[20:23], 0 offen lds               // 000000005118: E0511000 80050051
	s_add_u32 m0, 0x1000, s49                                  // 000000005120: 807C31FF 00001000
	buffer_load_dword v82, s[20:23], 0 offen lds               // 000000005128: E0511000 80050052
	s_add_u32 m0, 0x1100, s49                                  // 000000005130: 807C31FF 00001100
	buffer_load_dword v83, s[20:23], 0 offen lds               // 000000005138: E0511000 80050053
	s_add_u32 m0, 0, s50                                       // 000000005140: 807C3280
	s_waitcnt vmcnt(20)                                        // 000000005144: BF8C4F74
	s_barrier                                                  // 000000005148: BF8A0000
	v_mfma_f32_16x16x32_fp8_fp8 v[124:127], a[160:161], a[72:73], v[124:127]// 00000000514C: D3F3007C 1DF291A0
	v_mfma_f32_16x16x32_fp8_fp8 v[124:127], a[162:163], a[74:75], v[124:127]// 000000005154: D3F3007C 1DF295A2
	buffer_load_dwordx4 a[152:155], v84, s[84:87], 0 offen     // 00000000515C: E05C1000 80959854
	v_mfma_f32_16x16x32_fp8_fp8 v[124:127], a[164:165], a[76:77], v[124:127]// 000000005164: D3F3007C 1DF299A4
	v_mfma_f32_16x16x32_fp8_fp8 v[124:127], a[166:167], a[78:79], v[124:127]// 00000000516C: D3F3007C 1DF29DA6
	ds_read_b128 a[0:3], v2                                    // 000000005174: DBFE0000 00000002
	ds_read_b128 a[4:7], v2 offset:64                          // 00000000517C: DBFE0040 04000002
	v_mfma_f32_16x16x32_fp8_fp8 v[128:131], a[160:161], a[80:81], v[128:131]// 000000005184: D3F30080 1E02A1A0
	v_mfma_f32_16x16x32_fp8_fp8 v[128:131], a[162:163], a[82:83], v[128:131]// 00000000518C: D3F30080 1E02A5A2
	buffer_load_dwordx4 a[156:159], v84, s[84:87], 0 offen offset:1024// 000000005194: E05C1400 80959C54
	v_mfma_f32_16x16x32_fp8_fp8 v[128:131], a[164:165], a[84:85], v[128:131]// 00000000519C: D3F30080 1E02A9A4
	v_mfma_f32_16x16x32_fp8_fp8 v[128:131], a[166:167], a[86:87], v[128:131]// 0000000051A4: D3F30080 1E02ADA6
	ds_read_b128 a[8:11], v2 offset:512                        // 0000000051AC: DBFE0200 08000002
	ds_read_b128 a[12:15], v2 offset:576                       // 0000000051B4: DBFE0240 0C000002
	v_mfma_f32_16x16x32_fp8_fp8 v[132:135], a[160:161], a[88:89], v[132:135]// 0000000051BC: D3F30084 1E12B1A0
	v_mfma_f32_16x16x32_fp8_fp8 v[132:135], a[162:163], a[90:91], v[132:135]// 0000000051C4: D3F30084 1E12B5A2
	v_mfma_f32_16x16x32_fp8_fp8 v[132:135], a[164:165], a[92:93], v[132:135]// 0000000051CC: D3F30084 1E12B9A4
	v_mfma_f32_16x16x32_fp8_fp8 v[132:135], a[166:167], a[94:95], v[132:135]// 0000000051D4: D3F30084 1E12BDA6
	ds_read_b128 a[16:19], v2 offset:1024                      // 0000000051DC: DBFE0400 10000002
	ds_read_b128 a[20:23], v2 offset:1088                      // 0000000051E4: DBFE0440 14000002
	v_mfma_f32_16x16x32_fp8_fp8 v[136:139], a[160:161], a[96:97], v[136:139]// 0000000051EC: D3F30088 1E22C1A0
	v_mfma_f32_16x16x32_fp8_fp8 v[136:139], a[162:163], a[98:99], v[136:139]// 0000000051F4: D3F30088 1E22C5A2
	v_mfma_f32_16x16x32_fp8_fp8 v[136:139], a[164:165], a[100:101], v[136:139]// 0000000051FC: D3F30088 1E22C9A4
	v_mfma_f32_16x16x32_fp8_fp8 v[136:139], a[166:167], a[102:103], v[136:139]// 000000005204: D3F30088 1E22CDA6
	ds_read_b128 a[24:27], v2 offset:1536                      // 00000000520C: DBFE0600 18000002
	ds_read_b128 a[28:31], v2 offset:1600                      // 000000005214: DBFE0640 1C000002
	v_mfma_f32_16x16x32_fp8_fp8 v[140:143], a[160:161], a[104:105], v[140:143]// 00000000521C: D3F3008C 1E32D1A0
	v_mfma_f32_16x16x32_fp8_fp8 v[140:143], a[162:163], a[106:107], v[140:143]// 000000005224: D3F3008C 1E32D5A2
	v_mfma_f32_16x16x32_fp8_fp8 v[140:143], a[164:165], a[108:109], v[140:143]// 00000000522C: D3F3008C 1E32D9A4
	v_mfma_f32_16x16x32_fp8_fp8 v[140:143], a[166:167], a[110:111], v[140:143]// 000000005234: D3F3008C 1E32DDA6
	ds_read_b128 a[32:35], v2 offset:2048                      // 00000000523C: DBFE0800 20000002
	ds_read_b128 a[36:39], v2 offset:2112                      // 000000005244: DBFE0840 24000002
	v_mfma_f32_16x16x32_fp8_fp8 v[144:147], a[160:161], a[112:113], v[144:147]// 00000000524C: D3F30090 1E42E1A0
	v_mfma_f32_16x16x32_fp8_fp8 v[144:147], a[162:163], a[114:115], v[144:147]// 000000005254: D3F30090 1E42E5A2
	v_mfma_f32_16x16x32_fp8_fp8 v[144:147], a[164:165], a[116:117], v[144:147]// 00000000525C: D3F30090 1E42E9A4
	v_mfma_f32_16x16x32_fp8_fp8 v[144:147], a[166:167], a[118:119], v[144:147]// 000000005264: D3F30090 1E42EDA6
	ds_read_b128 a[40:43], v2 offset:2560                      // 00000000526C: DBFE0A00 28000002
	ds_read_b128 a[44:47], v2 offset:2624                      // 000000005274: DBFE0A40 2C000002
	v_mfma_f32_16x16x32_fp8_fp8 v[148:151], a[160:161], a[120:121], v[148:151]// 00000000527C: D3F30094 1E52F1A0
	v_mfma_f32_16x16x32_fp8_fp8 v[148:151], a[162:163], a[122:123], v[148:151]// 000000005284: D3F30094 1E52F5A2
	v_mfma_f32_16x16x32_fp8_fp8 v[148:151], a[164:165], a[124:125], v[148:151]// 00000000528C: D3F30094 1E52F9A4
	v_mfma_f32_16x16x32_fp8_fp8 v[148:151], a[166:167], a[126:127], v[148:151]// 000000005294: D3F30094 1E52FDA6
	ds_read_b128 a[48:51], v2 offset:3072                      // 00000000529C: DBFE0C00 30000002
	ds_read_b128 a[52:55], v2 offset:3136                      // 0000000052A4: DBFE0C40 34000002
	v_mfma_f32_16x16x32_fp8_fp8 v[152:155], a[160:161], a[128:129], v[152:155]// 0000000052AC: D3F30098 1E6301A0
	s_add_u32 s60, 0x180, s80                                  // 0000000052B4: 803C50FF 00000180
	s_cmp_lt_u32 s60, s81                                      // 0000000052BC: BF0A513C
	s_cselect_b32 s57, s57, 0                                  // 0000000052C0: 85398039
	v_mfma_f32_16x16x32_fp8_fp8 v[152:155], a[162:163], a[130:131], v[152:155]// 0000000052C4: D3F30098 1E6305A2
	s_add_u32 s60, 0x100, s80                                  // 0000000052CC: 803C50FF 00000100
	s_cmp_lt_u32 s60, s81                                      // 0000000052D4: BF0A513C
	s_cselect_b32 s58, s58, 0                                  // 0000000052D8: 853A803A
	v_mfma_f32_16x16x32_fp8_fp8 v[152:155], a[164:165], a[132:133], v[152:155]// 0000000052DC: D3F30098 1E6309A4
	s_add_u32 s60, 0x100, s80                                  // 0000000052E4: 803C50FF 00000100
	s_cmp_lt_u32 s60, s81                                      // 0000000052EC: BF0A513C
	s_cselect_b32 s83, s83, 0                                  // 0000000052F0: 85538053
	v_mfma_f32_16x16x32_fp8_fp8 v[152:155], a[166:167], a[134:135], v[152:155]// 0000000052F4: D3F30098 1E630DA6
	ds_read_b128 a[56:59], v2 offset:3584                      // 0000000052FC: DBFE0E00 38000002
	ds_read_b128 a[60:63], v2 offset:3648                      // 000000005304: DBFE0E40 3C000002
	s_add_u32 s24, s58, s24                                    // 00000000530C: 8018183A
	s_addc_u32 s25, 0, s25                                     // 000000005310: 82191980
	v_mfma_f32_16x16x32_fp8_fp8 v[156:159], a[160:161], a[136:137], v[156:159]// 000000005314: D3F3009C 1E7311A0
	s_add_u32 s20, s57, s20                                    // 00000000531C: 80141439
	s_addc_u32 s21, 0, s21                                     // 000000005320: 82151580
	v_mfma_f32_16x16x32_fp8_fp8 v[156:159], a[162:163], a[138:139], v[156:159]// 000000005324: D3F3009C 1E7315A2
	s_add_u32 s84, s83, s84                                    // 00000000532C: 80545453
	s_addc_u32 s85, 0, s85                                     // 000000005330: 82555580
	v_mfma_f32_16x16x32_fp8_fp8 v[156:159], a[164:165], a[140:141], v[156:159]// 000000005334: D3F3009C 1E7319A4
	v_mfma_f32_16x16x32_fp8_fp8 v[156:159], a[166:167], a[142:143], v[156:159]// 00000000533C: D3F3009C 1E731DA6
	ds_read_b128 a[64:67], v2 offset:4096                      // 000000005344: DBFE1000 40000002
	ds_read_b128 a[68:71], v2 offset:4160                      // 00000000534C: DBFE1040 44000002
	s_addk_i32 s80, 0x80                                       // 000000005354: B7500080
	s_cmp_lt_i32 s80, s81                                      // 000000005358: BF045150
	s_cbranch_scc0 label_0A59                                  // 00000000535C: BF840001
	s_branch label_03B6                                        // 000000005360: BF82F95D

0000000000005364 <label_0A59>:
	v_mul_f32_dpp v88, v24, v88 row_newbcast:0 row_mask:0xf bank_mask:0xf// 000000005364: 0AB0B0FA FF015018
	v_mul_f32_dpp v89, v24, v89 row_newbcast:1 row_mask:0xf bank_mask:0xf// 00000000536C: 0AB2B2FA FF015118
	v_mul_f32_dpp v90, v24, v90 row_newbcast:2 row_mask:0xf bank_mask:0xf// 000000005374: 0AB4B4FA FF015218
	v_mul_f32_dpp v91, v24, v91 row_newbcast:3 row_mask:0xf bank_mask:0xf// 00000000537C: 0AB6B6FA FF015318
	v_mul_f32_dpp v92, v24, v92 row_newbcast:0 row_mask:0xf bank_mask:0xf// 000000005384: 0AB8B8FA FF015018
	v_mul_f32_dpp v93, v24, v93 row_newbcast:1 row_mask:0xf bank_mask:0xf// 00000000538C: 0ABABAFA FF015118
	v_mul_f32_dpp v94, v24, v94 row_newbcast:2 row_mask:0xf bank_mask:0xf// 000000005394: 0ABCBCFA FF015218
	v_mul_f32_dpp v95, v24, v95 row_newbcast:3 row_mask:0xf bank_mask:0xf// 00000000539C: 0ABEBEFA FF015318
	v_mul_f32_dpp v96, v24, v96 row_newbcast:0 row_mask:0xf bank_mask:0xf// 0000000053A4: 0AC0C0FA FF015018
	v_mul_f32_dpp v97, v24, v97 row_newbcast:1 row_mask:0xf bank_mask:0xf// 0000000053AC: 0AC2C2FA FF015118
	v_mul_f32_dpp v98, v24, v98 row_newbcast:2 row_mask:0xf bank_mask:0xf// 0000000053B4: 0AC4C4FA FF015218
	v_mul_f32_dpp v99, v24, v99 row_newbcast:3 row_mask:0xf bank_mask:0xf// 0000000053BC: 0AC6C6FA FF015318
	v_mul_f32_dpp v100, v24, v100 row_newbcast:0 row_mask:0xf bank_mask:0xf// 0000000053C4: 0AC8C8FA FF015018
	v_mul_f32_dpp v101, v24, v101 row_newbcast:1 row_mask:0xf bank_mask:0xf// 0000000053CC: 0ACACAFA FF015118
	v_mul_f32_dpp v102, v24, v102 row_newbcast:2 row_mask:0xf bank_mask:0xf// 0000000053D4: 0ACCCCFA FF015218
	v_mul_f32_dpp v103, v24, v103 row_newbcast:3 row_mask:0xf bank_mask:0xf// 0000000053DC: 0ACECEFA FF015318
	v_mul_f32_dpp v104, v24, v104 row_newbcast:0 row_mask:0xf bank_mask:0xf// 0000000053E4: 0AD0D0FA FF015018
	v_mul_f32_dpp v105, v24, v105 row_newbcast:1 row_mask:0xf bank_mask:0xf// 0000000053EC: 0AD2D2FA FF015118
	v_mul_f32_dpp v106, v24, v106 row_newbcast:2 row_mask:0xf bank_mask:0xf// 0000000053F4: 0AD4D4FA FF015218
	v_mul_f32_dpp v107, v24, v107 row_newbcast:3 row_mask:0xf bank_mask:0xf// 0000000053FC: 0AD6D6FA FF015318
	v_mul_f32_dpp v108, v24, v108 row_newbcast:0 row_mask:0xf bank_mask:0xf// 000000005404: 0AD8D8FA FF015018
	v_mul_f32_dpp v109, v24, v109 row_newbcast:1 row_mask:0xf bank_mask:0xf// 00000000540C: 0ADADAFA FF015118
	v_mul_f32_dpp v110, v24, v110 row_newbcast:2 row_mask:0xf bank_mask:0xf// 000000005414: 0ADCDCFA FF015218
	v_mul_f32_dpp v111, v24, v111 row_newbcast:3 row_mask:0xf bank_mask:0xf// 00000000541C: 0ADEDEFA FF015318
	v_mul_f32_dpp v112, v24, v112 row_newbcast:0 row_mask:0xf bank_mask:0xf// 000000005424: 0AE0E0FA FF015018
	v_mul_f32_dpp v113, v24, v113 row_newbcast:1 row_mask:0xf bank_mask:0xf// 00000000542C: 0AE2E2FA FF015118
	v_mul_f32_dpp v114, v24, v114 row_newbcast:2 row_mask:0xf bank_mask:0xf// 000000005434: 0AE4E4FA FF015218
	v_mul_f32_dpp v115, v24, v115 row_newbcast:3 row_mask:0xf bank_mask:0xf// 00000000543C: 0AE6E6FA FF015318
	v_mul_f32_dpp v116, v24, v116 row_newbcast:0 row_mask:0xf bank_mask:0xf// 000000005444: 0AE8E8FA FF015018
	v_mul_f32_dpp v117, v24, v117 row_newbcast:1 row_mask:0xf bank_mask:0xf// 00000000544C: 0AEAEAFA FF015118
	v_mul_f32_dpp v118, v24, v118 row_newbcast:2 row_mask:0xf bank_mask:0xf// 000000005454: 0AECECFA FF015218
	v_mul_f32_dpp v119, v24, v119 row_newbcast:3 row_mask:0xf bank_mask:0xf// 00000000545C: 0AEEEEFA FF015318
	v_mul_f32_dpp v120, v24, v120 row_newbcast:0 row_mask:0xf bank_mask:0xf// 000000005464: 0AF0F0FA FF015018
	v_mul_f32_dpp v121, v24, v121 row_newbcast:1 row_mask:0xf bank_mask:0xf// 00000000546C: 0AF2F2FA FF015118
	v_mul_f32_dpp v122, v24, v122 row_newbcast:2 row_mask:0xf bank_mask:0xf// 000000005474: 0AF4F4FA FF015218
	v_mul_f32_dpp v123, v24, v123 row_newbcast:3 row_mask:0xf bank_mask:0xf// 00000000547C: 0AF6F6FA FF015318
	v_mul_f32_dpp v124, v27, v124 row_newbcast:0 row_mask:0xf bank_mask:0xf// 000000005484: 0AF8F8FA FF01501B
	v_mul_f32_dpp v125, v27, v125 row_newbcast:1 row_mask:0xf bank_mask:0xf// 00000000548C: 0AFAFAFA FF01511B
	v_mul_f32_dpp v126, v27, v126 row_newbcast:2 row_mask:0xf bank_mask:0xf// 000000005494: 0AFCFCFA FF01521B
	v_mul_f32_dpp v127, v27, v127 row_newbcast:3 row_mask:0xf bank_mask:0xf// 00000000549C: 0AFEFEFA FF01531B
	v_mul_f32_dpp v128, v27, v128 row_newbcast:0 row_mask:0xf bank_mask:0xf// 0000000054A4: 0B0100FA FF01501B
	v_mul_f32_dpp v129, v27, v129 row_newbcast:1 row_mask:0xf bank_mask:0xf// 0000000054AC: 0B0302FA FF01511B
	v_mul_f32_dpp v130, v27, v130 row_newbcast:2 row_mask:0xf bank_mask:0xf// 0000000054B4: 0B0504FA FF01521B
	v_mul_f32_dpp v131, v27, v131 row_newbcast:3 row_mask:0xf bank_mask:0xf// 0000000054BC: 0B0706FA FF01531B
	v_mul_f32_dpp v132, v27, v132 row_newbcast:0 row_mask:0xf bank_mask:0xf// 0000000054C4: 0B0908FA FF01501B
	v_mul_f32_dpp v133, v27, v133 row_newbcast:1 row_mask:0xf bank_mask:0xf// 0000000054CC: 0B0B0AFA FF01511B
	v_mul_f32_dpp v134, v27, v134 row_newbcast:2 row_mask:0xf bank_mask:0xf// 0000000054D4: 0B0D0CFA FF01521B
	v_mul_f32_dpp v135, v27, v135 row_newbcast:3 row_mask:0xf bank_mask:0xf// 0000000054DC: 0B0F0EFA FF01531B
	v_mul_f32_dpp v136, v27, v136 row_newbcast:0 row_mask:0xf bank_mask:0xf// 0000000054E4: 0B1110FA FF01501B
	v_mul_f32_dpp v137, v27, v137 row_newbcast:1 row_mask:0xf bank_mask:0xf// 0000000054EC: 0B1312FA FF01511B
	v_mul_f32_dpp v138, v27, v138 row_newbcast:2 row_mask:0xf bank_mask:0xf// 0000000054F4: 0B1514FA FF01521B
	v_mul_f32_dpp v139, v27, v139 row_newbcast:3 row_mask:0xf bank_mask:0xf// 0000000054FC: 0B1716FA FF01531B
	v_mul_f32_dpp v140, v27, v140 row_newbcast:0 row_mask:0xf bank_mask:0xf// 000000005504: 0B1918FA FF01501B
	v_mul_f32_dpp v141, v27, v141 row_newbcast:1 row_mask:0xf bank_mask:0xf// 00000000550C: 0B1B1AFA FF01511B
	v_mul_f32_dpp v142, v27, v142 row_newbcast:2 row_mask:0xf bank_mask:0xf// 000000005514: 0B1D1CFA FF01521B
	v_mul_f32_dpp v143, v27, v143 row_newbcast:3 row_mask:0xf bank_mask:0xf// 00000000551C: 0B1F1EFA FF01531B
	v_mul_f32_dpp v144, v27, v144 row_newbcast:0 row_mask:0xf bank_mask:0xf// 000000005524: 0B2120FA FF01501B
	v_mul_f32_dpp v145, v27, v145 row_newbcast:1 row_mask:0xf bank_mask:0xf// 00000000552C: 0B2322FA FF01511B
	v_mul_f32_dpp v146, v27, v146 row_newbcast:2 row_mask:0xf bank_mask:0xf// 000000005534: 0B2524FA FF01521B
	v_mul_f32_dpp v147, v27, v147 row_newbcast:3 row_mask:0xf bank_mask:0xf// 00000000553C: 0B2726FA FF01531B
	v_mul_f32_dpp v148, v27, v148 row_newbcast:0 row_mask:0xf bank_mask:0xf// 000000005544: 0B2928FA FF01501B
	v_mul_f32_dpp v149, v27, v149 row_newbcast:1 row_mask:0xf bank_mask:0xf// 00000000554C: 0B2B2AFA FF01511B
	v_mul_f32_dpp v150, v27, v150 row_newbcast:2 row_mask:0xf bank_mask:0xf// 000000005554: 0B2D2CFA FF01521B
	v_mul_f32_dpp v151, v27, v151 row_newbcast:3 row_mask:0xf bank_mask:0xf// 00000000555C: 0B2F2EFA FF01531B
	v_mul_f32_dpp v152, v27, v152 row_newbcast:0 row_mask:0xf bank_mask:0xf// 000000005564: 0B3130FA FF01501B
	v_mul_f32_dpp v153, v27, v153 row_newbcast:1 row_mask:0xf bank_mask:0xf// 00000000556C: 0B3332FA FF01511B
	v_mul_f32_dpp v154, v27, v154 row_newbcast:2 row_mask:0xf bank_mask:0xf// 000000005574: 0B3534FA FF01521B
	v_mul_f32_dpp v155, v27, v155 row_newbcast:3 row_mask:0xf bank_mask:0xf// 00000000557C: 0B3736FA FF01531B
	v_mul_f32_dpp v156, v27, v156 row_newbcast:0 row_mask:0xf bank_mask:0xf// 000000005584: 0B3938FA FF01501B
	v_mul_f32_dpp v157, v27, v157 row_newbcast:1 row_mask:0xf bank_mask:0xf// 00000000558C: 0B3B3AFA FF01511B
	v_mul_f32_dpp v158, v27, v158 row_newbcast:2 row_mask:0xf bank_mask:0xf// 000000005594: 0B3D3CFA FF01521B
	v_mul_f32_dpp v159, v27, v159 row_newbcast:3 row_mask:0xf bank_mask:0xf// 00000000559C: 0B3F3EFA FF01531B
	v_mul_f32_e32 v39, v39, v160                               // 0000000055A4: 0A4F4127
	v_mov_b32_e32 v4, v39                                      // 0000000055A8: 7E080327
	v_mov_b32_e32 v5, v4                                       // 0000000055AC: 7E0A0304
	v_pk_mul_f32 v[88:89], v[4:5], v[88:89]                    // 0000000055B0: D3B14058 1802B104
	v_pk_mul_f32 v[124:125], v[4:5], v[124:125]                // 0000000055B8: D3B1407C 1802F904
	v_pk_mul_f32 v[90:91], v[4:5], v[90:91]                    // 0000000055C0: D3B1405A 1802B504
	v_pk_mul_f32 v[126:127], v[4:5], v[126:127]                // 0000000055C8: D3B1407E 1802FD04
	v_mul_f32_e32 v40, v40, v161                               // 0000000055D0: 0A514328
	v_mov_b32_e32 v4, v40                                      // 0000000055D4: 7E080328
	v_mov_b32_e32 v5, v4                                       // 0000000055D8: 7E0A0304
	v_pk_mul_f32 v[92:93], v[4:5], v[92:93]                    // 0000000055DC: D3B1405C 1802B904
	v_pk_mul_f32 v[128:129], v[4:5], v[128:129]                // 0000000055E4: D3B14080 18030104
	v_pk_mul_f32 v[94:95], v[4:5], v[94:95]                    // 0000000055EC: D3B1405E 1802BD04
	v_pk_mul_f32 v[130:131], v[4:5], v[130:131]                // 0000000055F4: D3B14082 18030504
	v_mul_f32_e32 v41, v41, v162                               // 0000000055FC: 0A534529
	v_mov_b32_e32 v4, v41                                      // 000000005600: 7E080329
	v_mov_b32_e32 v5, v4                                       // 000000005604: 7E0A0304
	v_pk_mul_f32 v[96:97], v[4:5], v[96:97]                    // 000000005608: D3B14060 1802C104
	v_pk_mul_f32 v[132:133], v[4:5], v[132:133]                // 000000005610: D3B14084 18030904
	v_pk_mul_f32 v[98:99], v[4:5], v[98:99]                    // 000000005618: D3B14062 1802C504
	v_pk_mul_f32 v[134:135], v[4:5], v[134:135]                // 000000005620: D3B14086 18030D04
	v_mul_f32_e32 v42, v42, v163                               // 000000005628: 0A55472A
	v_mov_b32_e32 v4, v42                                      // 00000000562C: 7E08032A
	v_mov_b32_e32 v5, v4                                       // 000000005630: 7E0A0304
	v_pk_mul_f32 v[100:101], v[4:5], v[100:101]                // 000000005634: D3B14064 1802C904
	v_pk_mul_f32 v[136:137], v[4:5], v[136:137]                // 00000000563C: D3B14088 18031104
	v_pk_mul_f32 v[102:103], v[4:5], v[102:103]                // 000000005644: D3B14066 1802CD04
	v_pk_mul_f32 v[138:139], v[4:5], v[138:139]                // 00000000564C: D3B1408A 18031504
	v_mul_f32_e32 v43, v43, v164                               // 000000005654: 0A57492B
	v_mov_b32_e32 v4, v43                                      // 000000005658: 7E08032B
	v_mov_b32_e32 v5, v4                                       // 00000000565C: 7E0A0304
	v_pk_mul_f32 v[104:105], v[4:5], v[104:105]                // 000000005660: D3B14068 1802D104
	v_pk_mul_f32 v[140:141], v[4:5], v[140:141]                // 000000005668: D3B1408C 18031904
	v_pk_mul_f32 v[106:107], v[4:5], v[106:107]                // 000000005670: D3B1406A 1802D504
	v_pk_mul_f32 v[142:143], v[4:5], v[142:143]                // 000000005678: D3B1408E 18031D04
	v_mul_f32_e32 v44, v44, v165                               // 000000005680: 0A594B2C
	v_mov_b32_e32 v4, v44                                      // 000000005684: 7E08032C
	v_mov_b32_e32 v5, v4                                       // 000000005688: 7E0A0304
	v_pk_mul_f32 v[108:109], v[4:5], v[108:109]                // 00000000568C: D3B1406C 1802D904
	v_pk_mul_f32 v[144:145], v[4:5], v[144:145]                // 000000005694: D3B14090 18032104
	v_pk_mul_f32 v[110:111], v[4:5], v[110:111]                // 00000000569C: D3B1406E 1802DD04
	v_pk_mul_f32 v[146:147], v[4:5], v[146:147]                // 0000000056A4: D3B14092 18032504
	v_mul_f32_e32 v45, v45, v166                               // 0000000056AC: 0A5B4D2D
	v_mov_b32_e32 v4, v45                                      // 0000000056B0: 7E08032D
	v_mov_b32_e32 v5, v4                                       // 0000000056B4: 7E0A0304
	v_pk_mul_f32 v[112:113], v[4:5], v[112:113]                // 0000000056B8: D3B14070 1802E104
	v_pk_mul_f32 v[148:149], v[4:5], v[148:149]                // 0000000056C0: D3B14094 18032904
	v_pk_mul_f32 v[114:115], v[4:5], v[114:115]                // 0000000056C8: D3B14072 1802E504
	v_pk_mul_f32 v[150:151], v[4:5], v[150:151]                // 0000000056D0: D3B14096 18032D04
	v_mul_f32_e32 v46, v46, v167                               // 0000000056D8: 0A5D4F2E
	v_mov_b32_e32 v4, v46                                      // 0000000056DC: 7E08032E
	v_mov_b32_e32 v5, v4                                       // 0000000056E0: 7E0A0304
	v_pk_mul_f32 v[116:117], v[4:5], v[116:117]                // 0000000056E4: D3B14074 1802E904
	v_pk_mul_f32 v[152:153], v[4:5], v[152:153]                // 0000000056EC: D3B14098 18033104
	v_pk_mul_f32 v[118:119], v[4:5], v[118:119]                // 0000000056F4: D3B14076 1802ED04
	v_pk_mul_f32 v[154:155], v[4:5], v[154:155]                // 0000000056FC: D3B1409A 18033504
	v_mul_f32_e32 v47, v47, v168                               // 000000005704: 0A5F512F
	v_mov_b32_e32 v4, v47                                      // 000000005708: 7E08032F
	v_mov_b32_e32 v5, v4                                       // 00000000570C: 7E0A0304
	v_pk_mul_f32 v[120:121], v[4:5], v[120:121]                // 000000005710: D3B14078 1802F104
	v_pk_mul_f32 v[156:157], v[4:5], v[156:157]                // 000000005718: D3B1409C 18033904
	v_pk_mul_f32 v[122:123], v[4:5], v[122:123]                // 000000005720: D3B1407A 1802F504
	v_pk_mul_f32 v[158:159], v[4:5], v[158:159]                // 000000005728: D3B1409E 18033D04
	s_cmp_eq_u32 s88, 0                                        // 000000005730: BF068058
	s_cbranch_scc0 label_11F9                                  // 000000005734: BF8406AB
	s_cmp_eq_u32 s89, 0                                        // 000000005738: BF068059
	s_cbranch_scc1 label_0CBD                                  // 00000000573C: BF85016D
	v_mov_b32_e32 v8, v1                                       // 000000005740: 7E100301
	v_mov_b32_e32 v9, v1                                       // 000000005744: 7E120301
	s_mov_b32 s60, s6                                          // 000000005748: BEBC0006
	s_mov_b32 s61, s6                                          // 00000000574C: BEBD0006
	v_pk_mul_f32 v[4:5], v[88:89], v[88:89]                    // 000000005750: D3B14004 1802B158
	v_pk_mul_f32 v[6:7], v[90:91], v[90:91]                    // 000000005758: D3B14006 1802B55A
	v_pk_fma_f32 v[4:5], v[4:5], s[78:79], v[8:9]              // 000000005760: D3B04004 1C209D04
	v_pk_fma_f32 v[6:7], v[6:7], s[78:79], v[8:9]              // 000000005768: D3B04006 1C209D06
	v_pk_mul_f32 v[4:5], v[4:5], v[88:89]                      // 000000005770: D3B14004 1802B104
	v_pk_mul_f32 v[6:7], v[6:7], v[90:91]                      // 000000005778: D3B14006 1802B506
	v_pk_mul_f32 v[4:5], v[4:5], s[60:61]                      // 000000005780: D3B14004 18007904
	v_pk_mul_f32 v[6:7], v[6:7], s[60:61]                      // 000000005788: D3B14006 18007906
	v_exp_f32_e32 v4, v4                                       // 000000005790: 7E084104
	v_exp_f32_e32 v5, v5                                       // 000000005794: 7E0A4105
	v_exp_f32_e32 v6, v6                                       // 000000005798: 7E0C4106
	v_exp_f32_e32 v7, v7                                       // 00000000579C: 7E0E4107
	v_add_f32_e64 v4, v4, 1.0                                  // 0000000057A0: D1010004 0001E504
	v_add_f32_e64 v5, v5, 1.0                                  // 0000000057A8: D1010005 0001E505
	v_add_f32_e64 v6, v6, 1.0                                  // 0000000057B0: D1010006 0001E506
	v_add_f32_e64 v7, v7, 1.0                                  // 0000000057B8: D1010007 0001E507
	v_rcp_f32_e32 v4, v4                                       // 0000000057C0: 7E084504
	v_rcp_f32_e32 v5, v5                                       // 0000000057C4: 7E0A4505
	v_rcp_f32_e32 v6, v6                                       // 0000000057C8: 7E0C4506
	v_rcp_f32_e32 v7, v7                                       // 0000000057CC: 7E0E4507
	v_mul_f32_e32 v88, v88, v4                                 // 0000000057D0: 0AB00958
	v_mul_f32_e32 v89, v89, v5                                 // 0000000057D4: 0AB20B59
	v_mul_f32_e32 v90, v90, v6                                 // 0000000057D8: 0AB40D5A
	v_mul_f32_e32 v91, v91, v7                                 // 0000000057DC: 0AB60F5B
	v_mul_f32_e32 v88, v88, v124                               // 0000000057E0: 0AB0F958
	v_mul_f32_e32 v89, v89, v125                               // 0000000057E4: 0AB2FB59
	v_mul_f32_e32 v90, v90, v126                               // 0000000057E8: 0AB4FD5A
	v_mul_f32_e32 v91, v91, v127                               // 0000000057EC: 0AB6FF5B
	v_pk_mul_f32 v[4:5], v[92:93], v[92:93]                    // 0000000057F0: D3B14004 1802B95C
	v_pk_mul_f32 v[6:7], v[94:95], v[94:95]                    // 0000000057F8: D3B14006 1802BD5E
	v_pk_fma_f32 v[4:5], v[4:5], s[78:79], v[8:9]              // 000000005800: D3B04004 1C209D04
	v_pk_fma_f32 v[6:7], v[6:7], s[78:79], v[8:9]              // 000000005808: D3B04006 1C209D06
	v_pk_mul_f32 v[4:5], v[4:5], v[92:93]                      // 000000005810: D3B14004 1802B904
	v_pk_mul_f32 v[6:7], v[6:7], v[94:95]                      // 000000005818: D3B14006 1802BD06
	v_pk_mul_f32 v[4:5], v[4:5], s[60:61]                      // 000000005820: D3B14004 18007904
	v_pk_mul_f32 v[6:7], v[6:7], s[60:61]                      // 000000005828: D3B14006 18007906
	v_exp_f32_e32 v4, v4                                       // 000000005830: 7E084104
	v_exp_f32_e32 v5, v5                                       // 000000005834: 7E0A4105
	v_exp_f32_e32 v6, v6                                       // 000000005838: 7E0C4106
	v_exp_f32_e32 v7, v7                                       // 00000000583C: 7E0E4107
	v_add_f32_e64 v4, v4, 1.0                                  // 000000005840: D1010004 0001E504
	v_add_f32_e64 v5, v5, 1.0                                  // 000000005848: D1010005 0001E505
	v_add_f32_e64 v6, v6, 1.0                                  // 000000005850: D1010006 0001E506
	v_add_f32_e64 v7, v7, 1.0                                  // 000000005858: D1010007 0001E507
	v_rcp_f32_e32 v4, v4                                       // 000000005860: 7E084504
	v_rcp_f32_e32 v5, v5                                       // 000000005864: 7E0A4505
	v_rcp_f32_e32 v6, v6                                       // 000000005868: 7E0C4506
	v_rcp_f32_e32 v7, v7                                       // 00000000586C: 7E0E4507
	v_mul_f32_e32 v92, v92, v4                                 // 000000005870: 0AB8095C
	v_mul_f32_e32 v93, v93, v5                                 // 000000005874: 0ABA0B5D
	v_mul_f32_e32 v94, v94, v6                                 // 000000005878: 0ABC0D5E
	v_mul_f32_e32 v95, v95, v7                                 // 00000000587C: 0ABE0F5F
	v_mul_f32_e32 v92, v92, v128                               // 000000005880: 0AB9015C
	v_mul_f32_e32 v93, v93, v129                               // 000000005884: 0ABB035D
	v_mul_f32_e32 v94, v94, v130                               // 000000005888: 0ABD055E
	v_mul_f32_e32 v95, v95, v131                               // 00000000588C: 0ABF075F
	v_pk_mul_f32 v[4:5], v[96:97], v[96:97]                    // 000000005890: D3B14004 1802C160
	v_pk_mul_f32 v[6:7], v[98:99], v[98:99]                    // 000000005898: D3B14006 1802C562
	v_pk_fma_f32 v[4:5], v[4:5], s[78:79], v[8:9]              // 0000000058A0: D3B04004 1C209D04
	v_pk_fma_f32 v[6:7], v[6:7], s[78:79], v[8:9]              // 0000000058A8: D3B04006 1C209D06
	v_pk_mul_f32 v[4:5], v[4:5], v[96:97]                      // 0000000058B0: D3B14004 1802C104
	v_pk_mul_f32 v[6:7], v[6:7], v[98:99]                      // 0000000058B8: D3B14006 1802C506
	v_pk_mul_f32 v[4:5], v[4:5], s[60:61]                      // 0000000058C0: D3B14004 18007904
	v_pk_mul_f32 v[6:7], v[6:7], s[60:61]                      // 0000000058C8: D3B14006 18007906
	v_exp_f32_e32 v4, v4                                       // 0000000058D0: 7E084104
	v_exp_f32_e32 v5, v5                                       // 0000000058D4: 7E0A4105
	v_exp_f32_e32 v6, v6                                       // 0000000058D8: 7E0C4106
	v_exp_f32_e32 v7, v7                                       // 0000000058DC: 7E0E4107
	v_add_f32_e64 v4, v4, 1.0                                  // 0000000058E0: D1010004 0001E504
	v_add_f32_e64 v5, v5, 1.0                                  // 0000000058E8: D1010005 0001E505
	v_add_f32_e64 v6, v6, 1.0                                  // 0000000058F0: D1010006 0001E506
	v_add_f32_e64 v7, v7, 1.0                                  // 0000000058F8: D1010007 0001E507
	v_rcp_f32_e32 v4, v4                                       // 000000005900: 7E084504
	v_rcp_f32_e32 v5, v5                                       // 000000005904: 7E0A4505
	v_rcp_f32_e32 v6, v6                                       // 000000005908: 7E0C4506
	v_rcp_f32_e32 v7, v7                                       // 00000000590C: 7E0E4507
	v_mul_f32_e32 v96, v96, v4                                 // 000000005910: 0AC00960
	v_mul_f32_e32 v97, v97, v5                                 // 000000005914: 0AC20B61
	v_mul_f32_e32 v98, v98, v6                                 // 000000005918: 0AC40D62
	v_mul_f32_e32 v99, v99, v7                                 // 00000000591C: 0AC60F63
	v_mul_f32_e32 v96, v96, v132                               // 000000005920: 0AC10960
	v_mul_f32_e32 v97, v97, v133                               // 000000005924: 0AC30B61
	v_mul_f32_e32 v98, v98, v134                               // 000000005928: 0AC50D62
	v_mul_f32_e32 v99, v99, v135                               // 00000000592C: 0AC70F63
	v_pk_mul_f32 v[4:5], v[100:101], v[100:101]                // 000000005930: D3B14004 1802C964
	v_pk_mul_f32 v[6:7], v[102:103], v[102:103]                // 000000005938: D3B14006 1802CD66
	v_pk_fma_f32 v[4:5], v[4:5], s[78:79], v[8:9]              // 000000005940: D3B04004 1C209D04
	v_pk_fma_f32 v[6:7], v[6:7], s[78:79], v[8:9]              // 000000005948: D3B04006 1C209D06
	v_pk_mul_f32 v[4:5], v[4:5], v[100:101]                    // 000000005950: D3B14004 1802C904
	v_pk_mul_f32 v[6:7], v[6:7], v[102:103]                    // 000000005958: D3B14006 1802CD06
	v_pk_mul_f32 v[4:5], v[4:5], s[60:61]                      // 000000005960: D3B14004 18007904
	v_pk_mul_f32 v[6:7], v[6:7], s[60:61]                      // 000000005968: D3B14006 18007906
	v_exp_f32_e32 v4, v4                                       // 000000005970: 7E084104
	v_exp_f32_e32 v5, v5                                       // 000000005974: 7E0A4105
	v_exp_f32_e32 v6, v6                                       // 000000005978: 7E0C4106
	v_exp_f32_e32 v7, v7                                       // 00000000597C: 7E0E4107
	v_add_f32_e64 v4, v4, 1.0                                  // 000000005980: D1010004 0001E504
	v_add_f32_e64 v5, v5, 1.0                                  // 000000005988: D1010005 0001E505
	v_add_f32_e64 v6, v6, 1.0                                  // 000000005990: D1010006 0001E506
	v_add_f32_e64 v7, v7, 1.0                                  // 000000005998: D1010007 0001E507
	v_rcp_f32_e32 v4, v4                                       // 0000000059A0: 7E084504
	v_rcp_f32_e32 v5, v5                                       // 0000000059A4: 7E0A4505
	v_rcp_f32_e32 v6, v6                                       // 0000000059A8: 7E0C4506
	v_rcp_f32_e32 v7, v7                                       // 0000000059AC: 7E0E4507
	v_mul_f32_e32 v100, v100, v4                               // 0000000059B0: 0AC80964
	v_mul_f32_e32 v101, v101, v5                               // 0000000059B4: 0ACA0B65
	v_mul_f32_e32 v102, v102, v6                               // 0000000059B8: 0ACC0D66
	v_mul_f32_e32 v103, v103, v7                               // 0000000059BC: 0ACE0F67
	v_mul_f32_e32 v100, v100, v136                             // 0000000059C0: 0AC91164
	v_mul_f32_e32 v101, v101, v137                             // 0000000059C4: 0ACB1365
	v_mul_f32_e32 v102, v102, v138                             // 0000000059C8: 0ACD1566
	v_mul_f32_e32 v103, v103, v139                             // 0000000059CC: 0ACF1767
	v_pk_mul_f32 v[4:5], v[104:105], v[104:105]                // 0000000059D0: D3B14004 1802D168
	v_pk_mul_f32 v[6:7], v[106:107], v[106:107]                // 0000000059D8: D3B14006 1802D56A
	v_pk_fma_f32 v[4:5], v[4:5], s[78:79], v[8:9]              // 0000000059E0: D3B04004 1C209D04
	v_pk_fma_f32 v[6:7], v[6:7], s[78:79], v[8:9]              // 0000000059E8: D3B04006 1C209D06
	v_pk_mul_f32 v[4:5], v[4:5], v[104:105]                    // 0000000059F0: D3B14004 1802D104
	v_pk_mul_f32 v[6:7], v[6:7], v[106:107]                    // 0000000059F8: D3B14006 1802D506
	v_pk_mul_f32 v[4:5], v[4:5], s[60:61]                      // 000000005A00: D3B14004 18007904
	v_pk_mul_f32 v[6:7], v[6:7], s[60:61]                      // 000000005A08: D3B14006 18007906
	v_exp_f32_e32 v4, v4                                       // 000000005A10: 7E084104
	v_exp_f32_e32 v5, v5                                       // 000000005A14: 7E0A4105
	v_exp_f32_e32 v6, v6                                       // 000000005A18: 7E0C4106
	v_exp_f32_e32 v7, v7                                       // 000000005A1C: 7E0E4107
	v_add_f32_e64 v4, v4, 1.0                                  // 000000005A20: D1010004 0001E504
	v_add_f32_e64 v5, v5, 1.0                                  // 000000005A28: D1010005 0001E505
	v_add_f32_e64 v6, v6, 1.0                                  // 000000005A30: D1010006 0001E506
	v_add_f32_e64 v7, v7, 1.0                                  // 000000005A38: D1010007 0001E507
	v_rcp_f32_e32 v4, v4                                       // 000000005A40: 7E084504
	v_rcp_f32_e32 v5, v5                                       // 000000005A44: 7E0A4505
	v_rcp_f32_e32 v6, v6                                       // 000000005A48: 7E0C4506
	v_rcp_f32_e32 v7, v7                                       // 000000005A4C: 7E0E4507
	v_mul_f32_e32 v104, v104, v4                               // 000000005A50: 0AD00968
	v_mul_f32_e32 v105, v105, v5                               // 000000005A54: 0AD20B69
	v_mul_f32_e32 v106, v106, v6                               // 000000005A58: 0AD40D6A
	v_mul_f32_e32 v107, v107, v7                               // 000000005A5C: 0AD60F6B
	v_mul_f32_e32 v104, v104, v140                             // 000000005A60: 0AD11968
	v_mul_f32_e32 v105, v105, v141                             // 000000005A64: 0AD31B69
	v_mul_f32_e32 v106, v106, v142                             // 000000005A68: 0AD51D6A
	v_mul_f32_e32 v107, v107, v143                             // 000000005A6C: 0AD71F6B
	v_pk_mul_f32 v[4:5], v[108:109], v[108:109]                // 000000005A70: D3B14004 1802D96C
	v_pk_mul_f32 v[6:7], v[110:111], v[110:111]                // 000000005A78: D3B14006 1802DD6E
	v_pk_fma_f32 v[4:5], v[4:5], s[78:79], v[8:9]              // 000000005A80: D3B04004 1C209D04
	v_pk_fma_f32 v[6:7], v[6:7], s[78:79], v[8:9]              // 000000005A88: D3B04006 1C209D06
	v_pk_mul_f32 v[4:5], v[4:5], v[108:109]                    // 000000005A90: D3B14004 1802D904
	v_pk_mul_f32 v[6:7], v[6:7], v[110:111]                    // 000000005A98: D3B14006 1802DD06
	v_pk_mul_f32 v[4:5], v[4:5], s[60:61]                      // 000000005AA0: D3B14004 18007904
	v_pk_mul_f32 v[6:7], v[6:7], s[60:61]                      // 000000005AA8: D3B14006 18007906
	v_exp_f32_e32 v4, v4                                       // 000000005AB0: 7E084104
	v_exp_f32_e32 v5, v5                                       // 000000005AB4: 7E0A4105
	v_exp_f32_e32 v6, v6                                       // 000000005AB8: 7E0C4106
	v_exp_f32_e32 v7, v7                                       // 000000005ABC: 7E0E4107
	v_add_f32_e64 v4, v4, 1.0                                  // 000000005AC0: D1010004 0001E504
	v_add_f32_e64 v5, v5, 1.0                                  // 000000005AC8: D1010005 0001E505
	v_add_f32_e64 v6, v6, 1.0                                  // 000000005AD0: D1010006 0001E506
	v_add_f32_e64 v7, v7, 1.0                                  // 000000005AD8: D1010007 0001E507
	v_rcp_f32_e32 v4, v4                                       // 000000005AE0: 7E084504
	v_rcp_f32_e32 v5, v5                                       // 000000005AE4: 7E0A4505
	v_rcp_f32_e32 v6, v6                                       // 000000005AE8: 7E0C4506
	v_rcp_f32_e32 v7, v7                                       // 000000005AEC: 7E0E4507
	v_mul_f32_e32 v108, v108, v4                               // 000000005AF0: 0AD8096C
	v_mul_f32_e32 v109, v109, v5                               // 000000005AF4: 0ADA0B6D
	v_mul_f32_e32 v110, v110, v6                               // 000000005AF8: 0ADC0D6E
	v_mul_f32_e32 v111, v111, v7                               // 000000005AFC: 0ADE0F6F
	v_mul_f32_e32 v108, v108, v144                             // 000000005B00: 0AD9216C
	v_mul_f32_e32 v109, v109, v145                             // 000000005B04: 0ADB236D
	v_mul_f32_e32 v110, v110, v146                             // 000000005B08: 0ADD256E
	v_mul_f32_e32 v111, v111, v147                             // 000000005B0C: 0ADF276F
	v_pk_mul_f32 v[4:5], v[112:113], v[112:113]                // 000000005B10: D3B14004 1802E170
	v_pk_mul_f32 v[6:7], v[114:115], v[114:115]                // 000000005B18: D3B14006 1802E572
	v_pk_fma_f32 v[4:5], v[4:5], s[78:79], v[8:9]              // 000000005B20: D3B04004 1C209D04
	v_pk_fma_f32 v[6:7], v[6:7], s[78:79], v[8:9]              // 000000005B28: D3B04006 1C209D06
	v_pk_mul_f32 v[4:5], v[4:5], v[112:113]                    // 000000005B30: D3B14004 1802E104
	v_pk_mul_f32 v[6:7], v[6:7], v[114:115]                    // 000000005B38: D3B14006 1802E506
	v_pk_mul_f32 v[4:5], v[4:5], s[60:61]                      // 000000005B40: D3B14004 18007904
	v_pk_mul_f32 v[6:7], v[6:7], s[60:61]                      // 000000005B48: D3B14006 18007906
	v_exp_f32_e32 v4, v4                                       // 000000005B50: 7E084104
	v_exp_f32_e32 v5, v5                                       // 000000005B54: 7E0A4105
	v_exp_f32_e32 v6, v6                                       // 000000005B58: 7E0C4106
	v_exp_f32_e32 v7, v7                                       // 000000005B5C: 7E0E4107
	v_add_f32_e64 v4, v4, 1.0                                  // 000000005B60: D1010004 0001E504
	v_add_f32_e64 v5, v5, 1.0                                  // 000000005B68: D1010005 0001E505
	v_add_f32_e64 v6, v6, 1.0                                  // 000000005B70: D1010006 0001E506
	v_add_f32_e64 v7, v7, 1.0                                  // 000000005B78: D1010007 0001E507
	v_rcp_f32_e32 v4, v4                                       // 000000005B80: 7E084504
	v_rcp_f32_e32 v5, v5                                       // 000000005B84: 7E0A4505
	v_rcp_f32_e32 v6, v6                                       // 000000005B88: 7E0C4506
	v_rcp_f32_e32 v7, v7                                       // 000000005B8C: 7E0E4507
	v_mul_f32_e32 v112, v112, v4                               // 000000005B90: 0AE00970
	v_mul_f32_e32 v113, v113, v5                               // 000000005B94: 0AE20B71
	v_mul_f32_e32 v114, v114, v6                               // 000000005B98: 0AE40D72
	v_mul_f32_e32 v115, v115, v7                               // 000000005B9C: 0AE60F73
	v_mul_f32_e32 v112, v112, v148                             // 000000005BA0: 0AE12970
	v_mul_f32_e32 v113, v113, v149                             // 000000005BA4: 0AE32B71
	v_mul_f32_e32 v114, v114, v150                             // 000000005BA8: 0AE52D72
	v_mul_f32_e32 v115, v115, v151                             // 000000005BAC: 0AE72F73
	v_pk_mul_f32 v[4:5], v[116:117], v[116:117]                // 000000005BB0: D3B14004 1802E974
	v_pk_mul_f32 v[6:7], v[118:119], v[118:119]                // 000000005BB8: D3B14006 1802ED76
	v_pk_fma_f32 v[4:5], v[4:5], s[78:79], v[8:9]              // 000000005BC0: D3B04004 1C209D04
	v_pk_fma_f32 v[6:7], v[6:7], s[78:79], v[8:9]              // 000000005BC8: D3B04006 1C209D06
	v_pk_mul_f32 v[4:5], v[4:5], v[116:117]                    // 000000005BD0: D3B14004 1802E904
	v_pk_mul_f32 v[6:7], v[6:7], v[118:119]                    // 000000005BD8: D3B14006 1802ED06
	v_pk_mul_f32 v[4:5], v[4:5], s[60:61]                      // 000000005BE0: D3B14004 18007904
	v_pk_mul_f32 v[6:7], v[6:7], s[60:61]                      // 000000005BE8: D3B14006 18007906
	v_exp_f32_e32 v4, v4                                       // 000000005BF0: 7E084104
	v_exp_f32_e32 v5, v5                                       // 000000005BF4: 7E0A4105
	v_exp_f32_e32 v6, v6                                       // 000000005BF8: 7E0C4106
	v_exp_f32_e32 v7, v7                                       // 000000005BFC: 7E0E4107
	v_add_f32_e64 v4, v4, 1.0                                  // 000000005C00: D1010004 0001E504
	v_add_f32_e64 v5, v5, 1.0                                  // 000000005C08: D1010005 0001E505
	v_add_f32_e64 v6, v6, 1.0                                  // 000000005C10: D1010006 0001E506
	v_add_f32_e64 v7, v7, 1.0                                  // 000000005C18: D1010007 0001E507
	v_rcp_f32_e32 v4, v4                                       // 000000005C20: 7E084504
	v_rcp_f32_e32 v5, v5                                       // 000000005C24: 7E0A4505
	v_rcp_f32_e32 v6, v6                                       // 000000005C28: 7E0C4506
	v_rcp_f32_e32 v7, v7                                       // 000000005C2C: 7E0E4507
	v_mul_f32_e32 v116, v116, v4                               // 000000005C30: 0AE80974
	v_mul_f32_e32 v117, v117, v5                               // 000000005C34: 0AEA0B75
	v_mul_f32_e32 v118, v118, v6                               // 000000005C38: 0AEC0D76
	v_mul_f32_e32 v119, v119, v7                               // 000000005C3C: 0AEE0F77
	v_mul_f32_e32 v116, v116, v152                             // 000000005C40: 0AE93174
	v_mul_f32_e32 v117, v117, v153                             // 000000005C44: 0AEB3375
	v_mul_f32_e32 v118, v118, v154                             // 000000005C48: 0AED3576
	v_mul_f32_e32 v119, v119, v155                             // 000000005C4C: 0AEF3777
	v_pk_mul_f32 v[4:5], v[120:121], v[120:121]                // 000000005C50: D3B14004 1802F178
	v_pk_mul_f32 v[6:7], v[122:123], v[122:123]                // 000000005C58: D3B14006 1802F57A
	v_pk_fma_f32 v[4:5], v[4:5], s[78:79], v[8:9]              // 000000005C60: D3B04004 1C209D04
	v_pk_fma_f32 v[6:7], v[6:7], s[78:79], v[8:9]              // 000000005C68: D3B04006 1C209D06
	v_pk_mul_f32 v[4:5], v[4:5], v[120:121]                    // 000000005C70: D3B14004 1802F104
	v_pk_mul_f32 v[6:7], v[6:7], v[122:123]                    // 000000005C78: D3B14006 1802F506
	v_pk_mul_f32 v[4:5], v[4:5], s[60:61]                      // 000000005C80: D3B14004 18007904
	v_pk_mul_f32 v[6:7], v[6:7], s[60:61]                      // 000000005C88: D3B14006 18007906
	v_exp_f32_e32 v4, v4                                       // 000000005C90: 7E084104
	v_exp_f32_e32 v5, v5                                       // 000000005C94: 7E0A4105
	v_exp_f32_e32 v6, v6                                       // 000000005C98: 7E0C4106
	v_exp_f32_e32 v7, v7                                       // 000000005C9C: 7E0E4107
	v_add_f32_e64 v4, v4, 1.0                                  // 000000005CA0: D1010004 0001E504
	v_add_f32_e64 v5, v5, 1.0                                  // 000000005CA8: D1010005 0001E505
	v_add_f32_e64 v6, v6, 1.0                                  // 000000005CB0: D1010006 0001E506
	v_add_f32_e64 v7, v7, 1.0                                  // 000000005CB8: D1010007 0001E507
	v_rcp_f32_e32 v4, v4                                       // 000000005CC0: 7E084504
	v_rcp_f32_e32 v5, v5                                       // 000000005CC4: 7E0A4505
	v_rcp_f32_e32 v6, v6                                       // 000000005CC8: 7E0C4506
	v_rcp_f32_e32 v7, v7                                       // 000000005CCC: 7E0E4507
	v_mul_f32_e32 v120, v120, v4                               // 000000005CD0: 0AF00978
	v_mul_f32_e32 v121, v121, v5                               // 000000005CD4: 0AF20B79
	v_mul_f32_e32 v122, v122, v6                               // 000000005CD8: 0AF40D7A
	v_mul_f32_e32 v123, v123, v7                               // 000000005CDC: 0AF60F7B
	v_mul_f32_e32 v120, v120, v156                             // 000000005CE0: 0AF13978
	v_mul_f32_e32 v121, v121, v157                             // 000000005CE4: 0AF33B79
	v_mul_f32_e32 v122, v122, v158                             // 000000005CE8: 0AF53D7A
	v_mul_f32_e32 v123, v123, v159                             // 000000005CEC: 0AF73F7B
	s_branch label_0DDD                                        // 000000005CF0: BF820120

0000000000005cf4 <label_0CBD>:
	v_mul_f32_e64 v4, -v88, s6                                 // 000000005CF4: D1050004 20000D58
	v_mul_f32_e64 v5, -v89, s6                                 // 000000005CFC: D1050005 20000D59
	v_mul_f32_e64 v6, -v90, s6                                 // 000000005D04: D1050006 20000D5A
	v_mul_f32_e64 v7, -v91, s6                                 // 000000005D0C: D1050007 20000D5B
	v_exp_f32_e32 v4, v4                                       // 000000005D14: 7E084104
	v_exp_f32_e32 v5, v5                                       // 000000005D18: 7E0A4105
	v_exp_f32_e32 v6, v6                                       // 000000005D1C: 7E0C4106
	v_exp_f32_e32 v7, v7                                       // 000000005D20: 7E0E4107
	v_add_f32_e64 v4, v4, 1.0                                  // 000000005D24: D1010004 0001E504
	v_add_f32_e64 v5, v5, 1.0                                  // 000000005D2C: D1010005 0001E505
	v_add_f32_e64 v6, v6, 1.0                                  // 000000005D34: D1010006 0001E506
	v_add_f32_e64 v7, v7, 1.0                                  // 000000005D3C: D1010007 0001E507
	v_rcp_f32_e32 v4, v4                                       // 000000005D44: 7E084504
	v_rcp_f32_e32 v5, v5                                       // 000000005D48: 7E0A4505
	v_rcp_f32_e32 v6, v6                                       // 000000005D4C: 7E0C4506
	v_rcp_f32_e32 v7, v7                                       // 000000005D50: 7E0E4507
	v_mul_f32_e32 v88, v88, v4                                 // 000000005D54: 0AB00958
	v_mul_f32_e32 v89, v89, v5                                 // 000000005D58: 0AB20B59
	v_mul_f32_e32 v90, v90, v6                                 // 000000005D5C: 0AB40D5A
	v_mul_f32_e32 v91, v91, v7                                 // 000000005D60: 0AB60F5B
	v_mul_f32_e32 v88, v88, v124                               // 000000005D64: 0AB0F958
	v_mul_f32_e32 v89, v89, v125                               // 000000005D68: 0AB2FB59
	v_mul_f32_e32 v90, v90, v126                               // 000000005D6C: 0AB4FD5A
	v_mul_f32_e32 v91, v91, v127                               // 000000005D70: 0AB6FF5B
	v_mul_f32_e64 v4, -v92, s6                                 // 000000005D74: D1050004 20000D5C
	v_mul_f32_e64 v5, -v93, s6                                 // 000000005D7C: D1050005 20000D5D
	v_mul_f32_e64 v6, -v94, s6                                 // 000000005D84: D1050006 20000D5E
	v_mul_f32_e64 v7, -v95, s6                                 // 000000005D8C: D1050007 20000D5F
	v_exp_f32_e32 v4, v4                                       // 000000005D94: 7E084104
	v_exp_f32_e32 v5, v5                                       // 000000005D98: 7E0A4105
	v_exp_f32_e32 v6, v6                                       // 000000005D9C: 7E0C4106
	v_exp_f32_e32 v7, v7                                       // 000000005DA0: 7E0E4107
	v_add_f32_e64 v4, v4, 1.0                                  // 000000005DA4: D1010004 0001E504
	v_add_f32_e64 v5, v5, 1.0                                  // 000000005DAC: D1010005 0001E505
	v_add_f32_e64 v6, v6, 1.0                                  // 000000005DB4: D1010006 0001E506
	v_add_f32_e64 v7, v7, 1.0                                  // 000000005DBC: D1010007 0001E507
	v_rcp_f32_e32 v4, v4                                       // 000000005DC4: 7E084504
	v_rcp_f32_e32 v5, v5                                       // 000000005DC8: 7E0A4505
	v_rcp_f32_e32 v6, v6                                       // 000000005DCC: 7E0C4506
	v_rcp_f32_e32 v7, v7                                       // 000000005DD0: 7E0E4507
	v_mul_f32_e32 v92, v92, v4                                 // 000000005DD4: 0AB8095C
	v_mul_f32_e32 v93, v93, v5                                 // 000000005DD8: 0ABA0B5D
	v_mul_f32_e32 v94, v94, v6                                 // 000000005DDC: 0ABC0D5E
	v_mul_f32_e32 v95, v95, v7                                 // 000000005DE0: 0ABE0F5F
	v_mul_f32_e32 v92, v92, v128                               // 000000005DE4: 0AB9015C
	v_mul_f32_e32 v93, v93, v129                               // 000000005DE8: 0ABB035D
	v_mul_f32_e32 v94, v94, v130                               // 000000005DEC: 0ABD055E
	v_mul_f32_e32 v95, v95, v131                               // 000000005DF0: 0ABF075F
	v_mul_f32_e64 v4, -v96, s6                                 // 000000005DF4: D1050004 20000D60
	v_mul_f32_e64 v5, -v97, s6                                 // 000000005DFC: D1050005 20000D61
	v_mul_f32_e64 v6, -v98, s6                                 // 000000005E04: D1050006 20000D62
	v_mul_f32_e64 v7, -v99, s6                                 // 000000005E0C: D1050007 20000D63
	v_exp_f32_e32 v4, v4                                       // 000000005E14: 7E084104
	v_exp_f32_e32 v5, v5                                       // 000000005E18: 7E0A4105
	v_exp_f32_e32 v6, v6                                       // 000000005E1C: 7E0C4106
	v_exp_f32_e32 v7, v7                                       // 000000005E20: 7E0E4107
	v_add_f32_e64 v4, v4, 1.0                                  // 000000005E24: D1010004 0001E504
	v_add_f32_e64 v5, v5, 1.0                                  // 000000005E2C: D1010005 0001E505
	v_add_f32_e64 v6, v6, 1.0                                  // 000000005E34: D1010006 0001E506
	v_add_f32_e64 v7, v7, 1.0                                  // 000000005E3C: D1010007 0001E507
	v_rcp_f32_e32 v4, v4                                       // 000000005E44: 7E084504
	v_rcp_f32_e32 v5, v5                                       // 000000005E48: 7E0A4505
	v_rcp_f32_e32 v6, v6                                       // 000000005E4C: 7E0C4506
	v_rcp_f32_e32 v7, v7                                       // 000000005E50: 7E0E4507
	v_mul_f32_e32 v96, v96, v4                                 // 000000005E54: 0AC00960
	v_mul_f32_e32 v97, v97, v5                                 // 000000005E58: 0AC20B61
	v_mul_f32_e32 v98, v98, v6                                 // 000000005E5C: 0AC40D62
	v_mul_f32_e32 v99, v99, v7                                 // 000000005E60: 0AC60F63
	v_mul_f32_e32 v96, v96, v132                               // 000000005E64: 0AC10960
	v_mul_f32_e32 v97, v97, v133                               // 000000005E68: 0AC30B61
	v_mul_f32_e32 v98, v98, v134                               // 000000005E6C: 0AC50D62
	v_mul_f32_e32 v99, v99, v135                               // 000000005E70: 0AC70F63
	v_mul_f32_e64 v4, -v100, s6                                // 000000005E74: D1050004 20000D64
	v_mul_f32_e64 v5, -v101, s6                                // 000000005E7C: D1050005 20000D65
	v_mul_f32_e64 v6, -v102, s6                                // 000000005E84: D1050006 20000D66
	v_mul_f32_e64 v7, -v103, s6                                // 000000005E8C: D1050007 20000D67
	v_exp_f32_e32 v4, v4                                       // 000000005E94: 7E084104
	v_exp_f32_e32 v5, v5                                       // 000000005E98: 7E0A4105
	v_exp_f32_e32 v6, v6                                       // 000000005E9C: 7E0C4106
	v_exp_f32_e32 v7, v7                                       // 000000005EA0: 7E0E4107
	v_add_f32_e64 v4, v4, 1.0                                  // 000000005EA4: D1010004 0001E504
	v_add_f32_e64 v5, v5, 1.0                                  // 000000005EAC: D1010005 0001E505
	v_add_f32_e64 v6, v6, 1.0                                  // 000000005EB4: D1010006 0001E506
	v_add_f32_e64 v7, v7, 1.0                                  // 000000005EBC: D1010007 0001E507
	v_rcp_f32_e32 v4, v4                                       // 000000005EC4: 7E084504
	v_rcp_f32_e32 v5, v5                                       // 000000005EC8: 7E0A4505
	v_rcp_f32_e32 v6, v6                                       // 000000005ECC: 7E0C4506
	v_rcp_f32_e32 v7, v7                                       // 000000005ED0: 7E0E4507
	v_mul_f32_e32 v100, v100, v4                               // 000000005ED4: 0AC80964
	v_mul_f32_e32 v101, v101, v5                               // 000000005ED8: 0ACA0B65
	v_mul_f32_e32 v102, v102, v6                               // 000000005EDC: 0ACC0D66
	v_mul_f32_e32 v103, v103, v7                               // 000000005EE0: 0ACE0F67
	v_mul_f32_e32 v100, v100, v136                             // 000000005EE4: 0AC91164
	v_mul_f32_e32 v101, v101, v137                             // 000000005EE8: 0ACB1365
	v_mul_f32_e32 v102, v102, v138                             // 000000005EEC: 0ACD1566
	v_mul_f32_e32 v103, v103, v139                             // 000000005EF0: 0ACF1767
	v_mul_f32_e64 v4, -v104, s6                                // 000000005EF4: D1050004 20000D68
	v_mul_f32_e64 v5, -v105, s6                                // 000000005EFC: D1050005 20000D69
	v_mul_f32_e64 v6, -v106, s6                                // 000000005F04: D1050006 20000D6A
	v_mul_f32_e64 v7, -v107, s6                                // 000000005F0C: D1050007 20000D6B
	v_exp_f32_e32 v4, v4                                       // 000000005F14: 7E084104
	v_exp_f32_e32 v5, v5                                       // 000000005F18: 7E0A4105
	v_exp_f32_e32 v6, v6                                       // 000000005F1C: 7E0C4106
	v_exp_f32_e32 v7, v7                                       // 000000005F20: 7E0E4107
	v_add_f32_e64 v4, v4, 1.0                                  // 000000005F24: D1010004 0001E504
	v_add_f32_e64 v5, v5, 1.0                                  // 000000005F2C: D1010005 0001E505
	v_add_f32_e64 v6, v6, 1.0                                  // 000000005F34: D1010006 0001E506
	v_add_f32_e64 v7, v7, 1.0                                  // 000000005F3C: D1010007 0001E507
	v_rcp_f32_e32 v4, v4                                       // 000000005F44: 7E084504
	v_rcp_f32_e32 v5, v5                                       // 000000005F48: 7E0A4505
	v_rcp_f32_e32 v6, v6                                       // 000000005F4C: 7E0C4506
	v_rcp_f32_e32 v7, v7                                       // 000000005F50: 7E0E4507
	v_mul_f32_e32 v104, v104, v4                               // 000000005F54: 0AD00968
	v_mul_f32_e32 v105, v105, v5                               // 000000005F58: 0AD20B69
	v_mul_f32_e32 v106, v106, v6                               // 000000005F5C: 0AD40D6A
	v_mul_f32_e32 v107, v107, v7                               // 000000005F60: 0AD60F6B
	v_mul_f32_e32 v104, v104, v140                             // 000000005F64: 0AD11968
	v_mul_f32_e32 v105, v105, v141                             // 000000005F68: 0AD31B69
	v_mul_f32_e32 v106, v106, v142                             // 000000005F6C: 0AD51D6A
	v_mul_f32_e32 v107, v107, v143                             // 000000005F70: 0AD71F6B
	v_mul_f32_e64 v4, -v108, s6                                // 000000005F74: D1050004 20000D6C
	v_mul_f32_e64 v5, -v109, s6                                // 000000005F7C: D1050005 20000D6D
	v_mul_f32_e64 v6, -v110, s6                                // 000000005F84: D1050006 20000D6E
	v_mul_f32_e64 v7, -v111, s6                                // 000000005F8C: D1050007 20000D6F
	v_exp_f32_e32 v4, v4                                       // 000000005F94: 7E084104
	v_exp_f32_e32 v5, v5                                       // 000000005F98: 7E0A4105
	v_exp_f32_e32 v6, v6                                       // 000000005F9C: 7E0C4106
	v_exp_f32_e32 v7, v7                                       // 000000005FA0: 7E0E4107
	v_add_f32_e64 v4, v4, 1.0                                  // 000000005FA4: D1010004 0001E504
	v_add_f32_e64 v5, v5, 1.0                                  // 000000005FAC: D1010005 0001E505
	v_add_f32_e64 v6, v6, 1.0                                  // 000000005FB4: D1010006 0001E506
	v_add_f32_e64 v7, v7, 1.0                                  // 000000005FBC: D1010007 0001E507
	v_rcp_f32_e32 v4, v4                                       // 000000005FC4: 7E084504
	v_rcp_f32_e32 v5, v5                                       // 000000005FC8: 7E0A4505
	v_rcp_f32_e32 v6, v6                                       // 000000005FCC: 7E0C4506
	v_rcp_f32_e32 v7, v7                                       // 000000005FD0: 7E0E4507
	v_mul_f32_e32 v108, v108, v4                               // 000000005FD4: 0AD8096C
	v_mul_f32_e32 v109, v109, v5                               // 000000005FD8: 0ADA0B6D
	v_mul_f32_e32 v110, v110, v6                               // 000000005FDC: 0ADC0D6E
	v_mul_f32_e32 v111, v111, v7                               // 000000005FE0: 0ADE0F6F
	v_mul_f32_e32 v108, v108, v144                             // 000000005FE4: 0AD9216C
	v_mul_f32_e32 v109, v109, v145                             // 000000005FE8: 0ADB236D
	v_mul_f32_e32 v110, v110, v146                             // 000000005FEC: 0ADD256E
	v_mul_f32_e32 v111, v111, v147                             // 000000005FF0: 0ADF276F
	v_mul_f32_e64 v4, -v112, s6                                // 000000005FF4: D1050004 20000D70
	v_mul_f32_e64 v5, -v113, s6                                // 000000005FFC: D1050005 20000D71
	v_mul_f32_e64 v6, -v114, s6                                // 000000006004: D1050006 20000D72
	v_mul_f32_e64 v7, -v115, s6                                // 00000000600C: D1050007 20000D73
	v_exp_f32_e32 v4, v4                                       // 000000006014: 7E084104
	v_exp_f32_e32 v5, v5                                       // 000000006018: 7E0A4105
	v_exp_f32_e32 v6, v6                                       // 00000000601C: 7E0C4106
	v_exp_f32_e32 v7, v7                                       // 000000006020: 7E0E4107
	v_add_f32_e64 v4, v4, 1.0                                  // 000000006024: D1010004 0001E504
	v_add_f32_e64 v5, v5, 1.0                                  // 00000000602C: D1010005 0001E505
	v_add_f32_e64 v6, v6, 1.0                                  // 000000006034: D1010006 0001E506
	v_add_f32_e64 v7, v7, 1.0                                  // 00000000603C: D1010007 0001E507
	v_rcp_f32_e32 v4, v4                                       // 000000006044: 7E084504
	v_rcp_f32_e32 v5, v5                                       // 000000006048: 7E0A4505
	v_rcp_f32_e32 v6, v6                                       // 00000000604C: 7E0C4506
	v_rcp_f32_e32 v7, v7                                       // 000000006050: 7E0E4507
	v_mul_f32_e32 v112, v112, v4                               // 000000006054: 0AE00970
	v_mul_f32_e32 v113, v113, v5                               // 000000006058: 0AE20B71
	v_mul_f32_e32 v114, v114, v6                               // 00000000605C: 0AE40D72
	v_mul_f32_e32 v115, v115, v7                               // 000000006060: 0AE60F73
	v_mul_f32_e32 v112, v112, v148                             // 000000006064: 0AE12970
	v_mul_f32_e32 v113, v113, v149                             // 000000006068: 0AE32B71
	v_mul_f32_e32 v114, v114, v150                             // 00000000606C: 0AE52D72
	v_mul_f32_e32 v115, v115, v151                             // 000000006070: 0AE72F73
	v_mul_f32_e64 v4, -v116, s6                                // 000000006074: D1050004 20000D74
	v_mul_f32_e64 v5, -v117, s6                                // 00000000607C: D1050005 20000D75
	v_mul_f32_e64 v6, -v118, s6                                // 000000006084: D1050006 20000D76
	v_mul_f32_e64 v7, -v119, s6                                // 00000000608C: D1050007 20000D77
	v_exp_f32_e32 v4, v4                                       // 000000006094: 7E084104
	v_exp_f32_e32 v5, v5                                       // 000000006098: 7E0A4105
	v_exp_f32_e32 v6, v6                                       // 00000000609C: 7E0C4106
	v_exp_f32_e32 v7, v7                                       // 0000000060A0: 7E0E4107
	v_add_f32_e64 v4, v4, 1.0                                  // 0000000060A4: D1010004 0001E504
	v_add_f32_e64 v5, v5, 1.0                                  // 0000000060AC: D1010005 0001E505
	v_add_f32_e64 v6, v6, 1.0                                  // 0000000060B4: D1010006 0001E506
	v_add_f32_e64 v7, v7, 1.0                                  // 0000000060BC: D1010007 0001E507
	v_rcp_f32_e32 v4, v4                                       // 0000000060C4: 7E084504
	v_rcp_f32_e32 v5, v5                                       // 0000000060C8: 7E0A4505
	v_rcp_f32_e32 v6, v6                                       // 0000000060CC: 7E0C4506
	v_rcp_f32_e32 v7, v7                                       // 0000000060D0: 7E0E4507
	v_mul_f32_e32 v116, v116, v4                               // 0000000060D4: 0AE80974
	v_mul_f32_e32 v117, v117, v5                               // 0000000060D8: 0AEA0B75
	v_mul_f32_e32 v118, v118, v6                               // 0000000060DC: 0AEC0D76
	v_mul_f32_e32 v119, v119, v7                               // 0000000060E0: 0AEE0F77
	v_mul_f32_e32 v116, v116, v152                             // 0000000060E4: 0AE93174
	v_mul_f32_e32 v117, v117, v153                             // 0000000060E8: 0AEB3375
	v_mul_f32_e32 v118, v118, v154                             // 0000000060EC: 0AED3576
	v_mul_f32_e32 v119, v119, v155                             // 0000000060F0: 0AEF3777
	v_mul_f32_e64 v4, -v120, s6                                // 0000000060F4: D1050004 20000D78
	v_mul_f32_e64 v5, -v121, s6                                // 0000000060FC: D1050005 20000D79
	v_mul_f32_e64 v6, -v122, s6                                // 000000006104: D1050006 20000D7A
	v_mul_f32_e64 v7, -v123, s6                                // 00000000610C: D1050007 20000D7B
	v_exp_f32_e32 v4, v4                                       // 000000006114: 7E084104
	v_exp_f32_e32 v5, v5                                       // 000000006118: 7E0A4105
	v_exp_f32_e32 v6, v6                                       // 00000000611C: 7E0C4106
	v_exp_f32_e32 v7, v7                                       // 000000006120: 7E0E4107
	v_add_f32_e64 v4, v4, 1.0                                  // 000000006124: D1010004 0001E504
	v_add_f32_e64 v5, v5, 1.0                                  // 00000000612C: D1010005 0001E505
	v_add_f32_e64 v6, v6, 1.0                                  // 000000006134: D1010006 0001E506
	v_add_f32_e64 v7, v7, 1.0                                  // 00000000613C: D1010007 0001E507
	v_rcp_f32_e32 v4, v4                                       // 000000006144: 7E084504
	v_rcp_f32_e32 v5, v5                                       // 000000006148: 7E0A4505
	v_rcp_f32_e32 v6, v6                                       // 00000000614C: 7E0C4506
	v_rcp_f32_e32 v7, v7                                       // 000000006150: 7E0E4507
	v_mul_f32_e32 v120, v120, v4                               // 000000006154: 0AF00978
	v_mul_f32_e32 v121, v121, v5                               // 000000006158: 0AF20B79
	v_mul_f32_e32 v122, v122, v6                               // 00000000615C: 0AF40D7A
	v_mul_f32_e32 v123, v123, v7                               // 000000006160: 0AF60F7B
	v_mul_f32_e32 v120, v120, v156                             // 000000006164: 0AF13978
	v_mul_f32_e32 v121, v121, v157                             // 000000006168: 0AF33B79
	v_mul_f32_e32 v122, v122, v158                             // 00000000616C: 0AF53D7A
	v_mul_f32_e32 v123, v123, v159                             // 000000006170: 0AF73F7B

0000000000006174 <label_0DDD>:
	v_cmp_u_f32_e64 s[46:47], v88, v88                         // 000000006174: D048002E 0002B158
	v_add3_u32 v16, v88, v19, 1                                // 00000000617C: D1FF0010 02062758
	v_cndmask_b32_e64 v4, v16, v18, s[46:47]                   // 000000006184: D1000004 00BA2510
	v_cmp_u_f32_e64 s[46:47], v89, v89                         // 00000000618C: D048002E 0002B359
	v_add3_u32 v16, v89, v19, 1                                // 000000006194: D1FF0010 02062759
	v_cndmask_b32_e64 v5, v16, v18, s[46:47]                   // 00000000619C: D1000005 00BA2510
	v_perm_b32 v88, v5, v4, s52                                // 0000000061A4: D1ED0058 00D20905
	v_cmp_u_f32_e64 s[46:47], v90, v90                         // 0000000061AC: D048002E 0002B55A
	v_add3_u32 v16, v90, v19, 1                                // 0000000061B4: D1FF0010 0206275A
	v_cndmask_b32_e64 v4, v16, v18, s[46:47]                   // 0000000061BC: D1000004 00BA2510
	v_cmp_u_f32_e64 s[46:47], v91, v91                         // 0000000061C4: D048002E 0002B75B
	v_add3_u32 v16, v91, v19, 1                                // 0000000061CC: D1FF0010 0206275B
	v_cndmask_b32_e64 v5, v16, v18, s[46:47]                   // 0000000061D4: D1000005 00BA2510
	v_perm_b32 v89, v5, v4, s52                                // 0000000061DC: D1ED0059 00D20905
	v_cmp_u_f32_e64 s[46:47], v92, v92                         // 0000000061E4: D048002E 0002B95C
	v_add3_u32 v16, v92, v19, 1                                // 0000000061EC: D1FF0010 0206275C
	v_cndmask_b32_e64 v4, v16, v18, s[46:47]                   // 0000000061F4: D1000004 00BA2510
	v_cmp_u_f32_e64 s[46:47], v93, v93                         // 0000000061FC: D048002E 0002BB5D
	v_add3_u32 v16, v93, v19, 1                                // 000000006204: D1FF0010 0206275D
	v_cndmask_b32_e64 v5, v16, v18, s[46:47]                   // 00000000620C: D1000005 00BA2510
	v_perm_b32 v90, v5, v4, s52                                // 000000006214: D1ED005A 00D20905
	v_cmp_u_f32_e64 s[46:47], v94, v94                         // 00000000621C: D048002E 0002BD5E
	v_add3_u32 v16, v94, v19, 1                                // 000000006224: D1FF0010 0206275E
	v_cndmask_b32_e64 v4, v16, v18, s[46:47]                   // 00000000622C: D1000004 00BA2510
	v_cmp_u_f32_e64 s[46:47], v95, v95                         // 000000006234: D048002E 0002BF5F
	v_add3_u32 v16, v95, v19, 1                                // 00000000623C: D1FF0010 0206275F
	v_cndmask_b32_e64 v5, v16, v18, s[46:47]                   // 000000006244: D1000005 00BA2510
	v_perm_b32 v91, v5, v4, s52                                // 00000000624C: D1ED005B 00D20905
	v_cmp_u_f32_e64 s[46:47], v96, v96                         // 000000006254: D048002E 0002C160
	v_add3_u32 v16, v96, v19, 1                                // 00000000625C: D1FF0010 02062760
	v_cndmask_b32_e64 v4, v16, v18, s[46:47]                   // 000000006264: D1000004 00BA2510
	v_cmp_u_f32_e64 s[46:47], v97, v97                         // 00000000626C: D048002E 0002C361
	v_add3_u32 v16, v97, v19, 1                                // 000000006274: D1FF0010 02062761
	v_cndmask_b32_e64 v5, v16, v18, s[46:47]                   // 00000000627C: D1000005 00BA2510
	v_perm_b32 v92, v5, v4, s52                                // 000000006284: D1ED005C 00D20905
	v_cmp_u_f32_e64 s[46:47], v98, v98                         // 00000000628C: D048002E 0002C562
	v_add3_u32 v16, v98, v19, 1                                // 000000006294: D1FF0010 02062762
	v_cndmask_b32_e64 v4, v16, v18, s[46:47]                   // 00000000629C: D1000004 00BA2510
	v_cmp_u_f32_e64 s[46:47], v99, v99                         // 0000000062A4: D048002E 0002C763
	v_add3_u32 v16, v99, v19, 1                                // 0000000062AC: D1FF0010 02062763
	v_cndmask_b32_e64 v5, v16, v18, s[46:47]                   // 0000000062B4: D1000005 00BA2510
	v_perm_b32 v93, v5, v4, s52                                // 0000000062BC: D1ED005D 00D20905
	v_cmp_u_f32_e64 s[46:47], v100, v100                       // 0000000062C4: D048002E 0002C964
	v_add3_u32 v16, v100, v19, 1                               // 0000000062CC: D1FF0010 02062764
	v_cndmask_b32_e64 v4, v16, v18, s[46:47]                   // 0000000062D4: D1000004 00BA2510
	v_cmp_u_f32_e64 s[46:47], v101, v101                       // 0000000062DC: D048002E 0002CB65
	v_add3_u32 v16, v101, v19, 1                               // 0000000062E4: D1FF0010 02062765
	v_cndmask_b32_e64 v5, v16, v18, s[46:47]                   // 0000000062EC: D1000005 00BA2510
	v_perm_b32 v94, v5, v4, s52                                // 0000000062F4: D1ED005E 00D20905
	v_cmp_u_f32_e64 s[46:47], v102, v102                       // 0000000062FC: D048002E 0002CD66
	v_add3_u32 v16, v102, v19, 1                               // 000000006304: D1FF0010 02062766
	v_cndmask_b32_e64 v4, v16, v18, s[46:47]                   // 00000000630C: D1000004 00BA2510
	v_cmp_u_f32_e64 s[46:47], v103, v103                       // 000000006314: D048002E 0002CF67
	v_add3_u32 v16, v103, v19, 1                               // 00000000631C: D1FF0010 02062767
	v_cndmask_b32_e64 v5, v16, v18, s[46:47]                   // 000000006324: D1000005 00BA2510
	v_perm_b32 v95, v5, v4, s52                                // 00000000632C: D1ED005F 00D20905
	v_cmp_u_f32_e64 s[46:47], v104, v104                       // 000000006334: D048002E 0002D168
	v_add3_u32 v16, v104, v19, 1                               // 00000000633C: D1FF0010 02062768
	v_cndmask_b32_e64 v4, v16, v18, s[46:47]                   // 000000006344: D1000004 00BA2510
	v_cmp_u_f32_e64 s[46:47], v105, v105                       // 00000000634C: D048002E 0002D369
	v_add3_u32 v16, v105, v19, 1                               // 000000006354: D1FF0010 02062769
	v_cndmask_b32_e64 v5, v16, v18, s[46:47]                   // 00000000635C: D1000005 00BA2510
	v_perm_b32 v96, v5, v4, s52                                // 000000006364: D1ED0060 00D20905
	v_cmp_u_f32_e64 s[46:47], v106, v106                       // 00000000636C: D048002E 0002D56A
	v_add3_u32 v16, v106, v19, 1                               // 000000006374: D1FF0010 0206276A
	v_cndmask_b32_e64 v4, v16, v18, s[46:47]                   // 00000000637C: D1000004 00BA2510
	v_cmp_u_f32_e64 s[46:47], v107, v107                       // 000000006384: D048002E 0002D76B
	v_add3_u32 v16, v107, v19, 1                               // 00000000638C: D1FF0010 0206276B
	v_cndmask_b32_e64 v5, v16, v18, s[46:47]                   // 000000006394: D1000005 00BA2510
	v_perm_b32 v97, v5, v4, s52                                // 00000000639C: D1ED0061 00D20905
	v_cmp_u_f32_e64 s[46:47], v108, v108                       // 0000000063A4: D048002E 0002D96C
	v_add3_u32 v16, v108, v19, 1                               // 0000000063AC: D1FF0010 0206276C
	v_cndmask_b32_e64 v4, v16, v18, s[46:47]                   // 0000000063B4: D1000004 00BA2510
	v_cmp_u_f32_e64 s[46:47], v109, v109                       // 0000000063BC: D048002E 0002DB6D
	v_add3_u32 v16, v109, v19, 1                               // 0000000063C4: D1FF0010 0206276D
	v_cndmask_b32_e64 v5, v16, v18, s[46:47]                   // 0000000063CC: D1000005 00BA2510
	v_perm_b32 v98, v5, v4, s52                                // 0000000063D4: D1ED0062 00D20905
	v_cmp_u_f32_e64 s[46:47], v110, v110                       // 0000000063DC: D048002E 0002DD6E
	v_add3_u32 v16, v110, v19, 1                               // 0000000063E4: D1FF0010 0206276E
	v_cndmask_b32_e64 v4, v16, v18, s[46:47]                   // 0000000063EC: D1000004 00BA2510
	v_cmp_u_f32_e64 s[46:47], v111, v111                       // 0000000063F4: D048002E 0002DF6F
	v_add3_u32 v16, v111, v19, 1                               // 0000000063FC: D1FF0010 0206276F
	v_cndmask_b32_e64 v5, v16, v18, s[46:47]                   // 000000006404: D1000005 00BA2510
	v_perm_b32 v99, v5, v4, s52                                // 00000000640C: D1ED0063 00D20905
	v_cmp_u_f32_e64 s[46:47], v112, v112                       // 000000006414: D048002E 0002E170
	v_add3_u32 v16, v112, v19, 1                               // 00000000641C: D1FF0010 02062770
	v_cndmask_b32_e64 v4, v16, v18, s[46:47]                   // 000000006424: D1000004 00BA2510
	v_cmp_u_f32_e64 s[46:47], v113, v113                       // 00000000642C: D048002E 0002E371
	v_add3_u32 v16, v113, v19, 1                               // 000000006434: D1FF0010 02062771
	v_cndmask_b32_e64 v5, v16, v18, s[46:47]                   // 00000000643C: D1000005 00BA2510
	v_perm_b32 v100, v5, v4, s52                               // 000000006444: D1ED0064 00D20905
	v_cmp_u_f32_e64 s[46:47], v114, v114                       // 00000000644C: D048002E 0002E572
	v_add3_u32 v16, v114, v19, 1                               // 000000006454: D1FF0010 02062772
	v_cndmask_b32_e64 v4, v16, v18, s[46:47]                   // 00000000645C: D1000004 00BA2510
	v_cmp_u_f32_e64 s[46:47], v115, v115                       // 000000006464: D048002E 0002E773
	v_add3_u32 v16, v115, v19, 1                               // 00000000646C: D1FF0010 02062773
	v_cndmask_b32_e64 v5, v16, v18, s[46:47]                   // 000000006474: D1000005 00BA2510
	v_perm_b32 v101, v5, v4, s52                               // 00000000647C: D1ED0065 00D20905
	v_cmp_u_f32_e64 s[46:47], v116, v116                       // 000000006484: D048002E 0002E974
	v_add3_u32 v16, v116, v19, 1                               // 00000000648C: D1FF0010 02062774
	v_cndmask_b32_e64 v4, v16, v18, s[46:47]                   // 000000006494: D1000004 00BA2510
	v_cmp_u_f32_e64 s[46:47], v117, v117                       // 00000000649C: D048002E 0002EB75
	v_add3_u32 v16, v117, v19, 1                               // 0000000064A4: D1FF0010 02062775
	v_cndmask_b32_e64 v5, v16, v18, s[46:47]                   // 0000000064AC: D1000005 00BA2510
	v_perm_b32 v102, v5, v4, s52                               // 0000000064B4: D1ED0066 00D20905
	v_cmp_u_f32_e64 s[46:47], v118, v118                       // 0000000064BC: D048002E 0002ED76
	v_add3_u32 v16, v118, v19, 1                               // 0000000064C4: D1FF0010 02062776
	v_cndmask_b32_e64 v4, v16, v18, s[46:47]                   // 0000000064CC: D1000004 00BA2510
	v_cmp_u_f32_e64 s[46:47], v119, v119                       // 0000000064D4: D048002E 0002EF77
	v_add3_u32 v16, v119, v19, 1                               // 0000000064DC: D1FF0010 02062777
	v_cndmask_b32_e64 v5, v16, v18, s[46:47]                   // 0000000064E4: D1000005 00BA2510
	v_perm_b32 v103, v5, v4, s52                               // 0000000064EC: D1ED0067 00D20905
	v_cmp_u_f32_e64 s[46:47], v120, v120                       // 0000000064F4: D048002E 0002F178
	v_add3_u32 v16, v120, v19, 1                               // 0000000064FC: D1FF0010 02062778
	v_cndmask_b32_e64 v4, v16, v18, s[46:47]                   // 000000006504: D1000004 00BA2510
	v_cmp_u_f32_e64 s[46:47], v121, v121                       // 00000000650C: D048002E 0002F379
	v_add3_u32 v16, v121, v19, 1                               // 000000006514: D1FF0010 02062779
	v_cndmask_b32_e64 v5, v16, v18, s[46:47]                   // 00000000651C: D1000005 00BA2510
	v_perm_b32 v104, v5, v4, s52                               // 000000006524: D1ED0068 00D20905
	v_cmp_u_f32_e64 s[46:47], v122, v122                       // 00000000652C: D048002E 0002F57A
	v_add3_u32 v16, v122, v19, 1                               // 000000006534: D1FF0010 0206277A
	v_cndmask_b32_e64 v4, v16, v18, s[46:47]                   // 00000000653C: D1000004 00BA2510
	v_cmp_u_f32_e64 s[46:47], v123, v123                       // 000000006544: D048002E 0002F77B
	v_add3_u32 v16, v123, v19, 1                               // 00000000654C: D1FF0010 0206277B
	v_cndmask_b32_e64 v5, v16, v18, s[46:47]                   // 000000006554: D1000005 00BA2510
	v_perm_b32 v105, v5, v4, s52                               // 00000000655C: D1ED0069 00D20905
	ds_write_b64 v20, v[88:89]                                 // 000000006564: D89A0000 00005814
	ds_write_b64 v20, v[90:91] offset:2176                     // 00000000656C: D89A0880 00005A14
	ds_write_b64 v20, v[92:93] offset:4352                     // 000000006574: D89A1100 00005C14
	ds_write_b64 v20, v[94:95] offset:6528                     // 00000000657C: D89A1980 00005E14
	ds_write_b64 v20, v[96:97] offset:8704                     // 000000006584: D89A2200 00006014
	ds_write_b64 v20, v[98:99] offset:10880                    // 00000000658C: D89A2A80 00006214
	ds_write_b64 v20, v[100:101] offset:13056                  // 000000006594: D89A3300 00006414
	ds_write_b64 v20, v[102:103] offset:15232                  // 00000000659C: D89A3B80 00006614
	ds_write_b64 v20, v[104:105] offset:17408                  // 0000000065A4: D89A4400 00006814
	v_lshrrev_b32_e32 v4, 5, v0                                // 0000000065AC: 20080085
	v_xor_b32_e32 v5, 1, v4                                    // 0000000065B0: 2A0A0881
	s_mul_i32 s60, s65, 2                                      // 0000000065B4: 923C8241
	s_cmp_eq_u32 s88, 0                                        // 0000000065B8: BF068058
	s_cselect_b32 s61, 1, 4                                    // 0000000065BC: 853D8481
	s_mul_i32 s60, s61, s60                                    // 0000000065C0: 923C3C3D
	v_readlane_b32 s82, v3, 0                                  // 0000000065C4: D2890052 00010103
	s_lshr_b32 s61, s82, 24                                    // 0000000065CC: 8F3D9852
	s_and_b32 s82, s82, 0xffffff                               // 0000000065D0: 8652FF52 00FFFFFF
	s_mul_i32 s82, s82, s71                                    // 0000000065D8: 92524752
	s_mul_i32 s61, s60, s61                                    // 0000000065DC: 923D3D3C
	s_add_u32 s82, s82, s61                                    // 0000000065E0: 80523D52
	v_mul_lo_u32 v6, v5, s82                                   // 0000000065E4: D2850006 0000A505
	v_readlane_b32 s82, v3, 1                                  // 0000000065EC: D2890052 00010303
	s_lshr_b32 s61, s82, 24                                    // 0000000065F4: 8F3D9852
	s_and_b32 s82, s82, 0xffffff                               // 0000000065F8: 8652FF52 00FFFFFF
	s_mul_i32 s82, s82, s71                                    // 000000006600: 92524752
	s_mul_i32 s61, s60, s61                                    // 000000006604: 923D3D3C
	s_add_u32 s82, s82, s61                                    // 000000006608: 80523D52
	v_mul_lo_u32 v7, v4, s82                                   // 00000000660C: D2850007 0000A504
	v_add_u32_e32 v66, v6, v7                                  // 000000006614: 68840F06
	v_readlane_b32 s82, v3, 2                                  // 000000006618: D2890052 00010503
	s_lshr_b32 s61, s82, 24                                    // 000000006620: 8F3D9852
	s_and_b32 s82, s82, 0xffffff                               // 000000006624: 8652FF52 00FFFFFF
	s_mul_i32 s82, s82, s71                                    // 00000000662C: 92524752
	s_mul_i32 s61, s60, s61                                    // 000000006630: 923D3D3C
	s_add_u32 s82, s82, s61                                    // 000000006634: 80523D52
	v_mul_lo_u32 v6, v5, s82                                   // 000000006638: D2850006 0000A505
	v_readlane_b32 s82, v3, 3                                  // 000000006640: D2890052 00010703
	s_lshr_b32 s61, s82, 24                                    // 000000006648: 8F3D9852
	s_and_b32 s82, s82, 0xffffff                               // 00000000664C: 8652FF52 00FFFFFF
	s_mul_i32 s82, s82, s71                                    // 000000006654: 92524752
	s_mul_i32 s61, s60, s61                                    // 000000006658: 923D3D3C
	s_add_u32 s82, s82, s61                                    // 00000000665C: 80523D52
	v_mul_lo_u32 v7, v4, s82                                   // 000000006660: D2850007 0000A504
	v_add_u32_e32 v67, v6, v7                                  // 000000006668: 68860F06
	v_readlane_b32 s82, v3, 4                                  // 00000000666C: D2890052 00010903
	s_lshr_b32 s61, s82, 24                                    // 000000006674: 8F3D9852
	s_and_b32 s82, s82, 0xffffff                               // 000000006678: 8652FF52 00FFFFFF
	s_mul_i32 s82, s82, s71                                    // 000000006680: 92524752
	s_mul_i32 s61, s60, s61                                    // 000000006684: 923D3D3C
	s_add_u32 s82, s82, s61                                    // 000000006688: 80523D52
	v_mul_lo_u32 v6, v5, s82                                   // 00000000668C: D2850006 0000A505
	v_readlane_b32 s82, v3, 5                                  // 000000006694: D2890052 00010B03
	s_lshr_b32 s61, s82, 24                                    // 00000000669C: 8F3D9852
	s_and_b32 s82, s82, 0xffffff                               // 0000000066A0: 8652FF52 00FFFFFF
	s_mul_i32 s82, s82, s71                                    // 0000000066A8: 92524752
	s_mul_i32 s61, s60, s61                                    // 0000000066AC: 923D3D3C
	s_add_u32 s82, s82, s61                                    // 0000000066B0: 80523D52
	v_mul_lo_u32 v7, v4, s82                                   // 0000000066B4: D2850007 0000A504
	v_add_u32_e32 v68, v6, v7                                  // 0000000066BC: 68880F06
	v_readlane_b32 s82, v3, 6                                  // 0000000066C0: D2890052 00010D03
	s_lshr_b32 s61, s82, 24                                    // 0000000066C8: 8F3D9852
	s_and_b32 s82, s82, 0xffffff                               // 0000000066CC: 8652FF52 00FFFFFF
	s_mul_i32 s82, s82, s71                                    // 0000000066D4: 92524752
	s_mul_i32 s61, s60, s61                                    // 0000000066D8: 923D3D3C
	s_add_u32 s82, s82, s61                                    // 0000000066DC: 80523D52
	v_mul_lo_u32 v6, v5, s82                                   // 0000000066E0: D2850006 0000A505
	v_readlane_b32 s82, v3, 7                                  // 0000000066E8: D2890052 00010F03
	s_lshr_b32 s61, s82, 24                                    // 0000000066F0: 8F3D9852
	s_and_b32 s82, s82, 0xffffff                               // 0000000066F4: 8652FF52 00FFFFFF
	s_mul_i32 s82, s82, s71                                    // 0000000066FC: 92524752
	s_mul_i32 s61, s60, s61                                    // 000000006700: 923D3D3C
	s_add_u32 s82, s82, s61                                    // 000000006704: 80523D52
	v_mul_lo_u32 v7, v4, s82                                   // 000000006708: D2850007 0000A504
	v_add_u32_e32 v69, v6, v7                                  // 000000006710: 688A0F06
	v_readlane_b32 s82, v3, 8                                  // 000000006714: D2890052 00011103
	s_lshr_b32 s61, s82, 24                                    // 00000000671C: 8F3D9852
	s_and_b32 s82, s82, 0xffffff                               // 000000006720: 8652FF52 00FFFFFF
	s_mul_i32 s82, s82, s71                                    // 000000006728: 92524752
	s_mul_i32 s61, s60, s61                                    // 00000000672C: 923D3D3C
	s_add_u32 s82, s82, s61                                    // 000000006730: 80523D52
	v_mul_lo_u32 v6, v5, s82                                   // 000000006734: D2850006 0000A505
	v_readlane_b32 s82, v3, 9                                  // 00000000673C: D2890052 00011303
	s_lshr_b32 s61, s82, 24                                    // 000000006744: 8F3D9852
	s_and_b32 s82, s82, 0xffffff                               // 000000006748: 8652FF52 00FFFFFF
	s_mul_i32 s82, s82, s71                                    // 000000006750: 92524752
	s_mul_i32 s61, s60, s61                                    // 000000006754: 923D3D3C
	s_add_u32 s82, s82, s61                                    // 000000006758: 80523D52
	v_mul_lo_u32 v7, v4, s82                                   // 00000000675C: D2850007 0000A504
	v_add_u32_e32 v70, v6, v7                                  // 000000006764: 688C0F06
	v_readlane_b32 s82, v3, 10                                 // 000000006768: D2890052 00011503
	s_lshr_b32 s61, s82, 24                                    // 000000006770: 8F3D9852
	s_and_b32 s82, s82, 0xffffff                               // 000000006774: 8652FF52 00FFFFFF
	s_mul_i32 s82, s82, s71                                    // 00000000677C: 92524752
	s_mul_i32 s61, s60, s61                                    // 000000006780: 923D3D3C
	s_add_u32 s82, s82, s61                                    // 000000006784: 80523D52
	v_mul_lo_u32 v6, v5, s82                                   // 000000006788: D2850006 0000A505
	v_readlane_b32 s82, v3, 11                                 // 000000006790: D2890052 00011703
	s_lshr_b32 s61, s82, 24                                    // 000000006798: 8F3D9852
	s_and_b32 s82, s82, 0xffffff                               // 00000000679C: 8652FF52 00FFFFFF
	s_mul_i32 s82, s82, s71                                    // 0000000067A4: 92524752
	s_mul_i32 s61, s60, s61                                    // 0000000067A8: 923D3D3C
	s_add_u32 s82, s82, s61                                    // 0000000067AC: 80523D52
	v_mul_lo_u32 v7, v4, s82                                   // 0000000067B0: D2850007 0000A504
	v_add_u32_e32 v71, v6, v7                                  // 0000000067B8: 688E0F06
	v_readlane_b32 s82, v3, 12                                 // 0000000067BC: D2890052 00011903
	s_lshr_b32 s61, s82, 24                                    // 0000000067C4: 8F3D9852
	s_and_b32 s82, s82, 0xffffff                               // 0000000067C8: 8652FF52 00FFFFFF
	s_mul_i32 s82, s82, s71                                    // 0000000067D0: 92524752
	s_mul_i32 s61, s60, s61                                    // 0000000067D4: 923D3D3C
	s_add_u32 s82, s82, s61                                    // 0000000067D8: 80523D52
	v_mul_lo_u32 v6, v5, s82                                   // 0000000067DC: D2850006 0000A505
	v_readlane_b32 s82, v3, 13                                 // 0000000067E4: D2890052 00011B03
	s_lshr_b32 s61, s82, 24                                    // 0000000067EC: 8F3D9852
	s_and_b32 s82, s82, 0xffffff                               // 0000000067F0: 8652FF52 00FFFFFF
	s_mul_i32 s82, s82, s71                                    // 0000000067F8: 92524752
	s_mul_i32 s61, s60, s61                                    // 0000000067FC: 923D3D3C
	s_add_u32 s82, s82, s61                                    // 000000006800: 80523D52
	v_mul_lo_u32 v7, v4, s82                                   // 000000006804: D2850007 0000A504
	v_add_u32_e32 v72, v6, v7                                  // 00000000680C: 68900F06
	v_readlane_b32 s82, v3, 14                                 // 000000006810: D2890052 00011D03
	s_lshr_b32 s61, s82, 24                                    // 000000006818: 8F3D9852
	s_and_b32 s82, s82, 0xffffff                               // 00000000681C: 8652FF52 00FFFFFF
	s_mul_i32 s82, s82, s71                                    // 000000006824: 92524752
	s_mul_i32 s61, s60, s61                                    // 000000006828: 923D3D3C
	s_add_u32 s82, s82, s61                                    // 00000000682C: 80523D52
	v_mul_lo_u32 v6, v5, s82                                   // 000000006830: D2850006 0000A505
	v_readlane_b32 s82, v3, 15                                 // 000000006838: D2890052 00011F03
	s_lshr_b32 s61, s82, 24                                    // 000000006840: 8F3D9852
	s_and_b32 s82, s82, 0xffffff                               // 000000006844: 8652FF52 00FFFFFF
	s_mul_i32 s82, s82, s71                                    // 00000000684C: 92524752
	s_mul_i32 s61, s60, s61                                    // 000000006850: 923D3D3C
	s_add_u32 s82, s82, s61                                    // 000000006854: 80523D52
	v_mul_lo_u32 v7, v4, s82                                   // 000000006858: D2850007 0000A504
	v_add_u32_e32 v73, v6, v7                                  // 000000006860: 68920F06
	v_readlane_b32 s82, v3, 16                                 // 000000006864: D2890052 00012103
	s_lshr_b32 s61, s82, 24                                    // 00000000686C: 8F3D9852
	s_and_b32 s82, s82, 0xffffff                               // 000000006870: 8652FF52 00FFFFFF
	s_mul_i32 s82, s82, s71                                    // 000000006878: 92524752
	s_mul_i32 s61, s60, s61                                    // 00000000687C: 923D3D3C
	s_add_u32 s82, s82, s61                                    // 000000006880: 80523D52
	v_mul_lo_u32 v6, v5, s82                                   // 000000006884: D2850006 0000A505
	v_readlane_b32 s82, v3, 17                                 // 00000000688C: D2890052 00012303
	s_lshr_b32 s61, s82, 24                                    // 000000006894: 8F3D9852
	s_and_b32 s82, s82, 0xffffff                               // 000000006898: 8652FF52 00FFFFFF
	s_mul_i32 s82, s82, s71                                    // 0000000068A0: 92524752
	s_mul_i32 s61, s60, s61                                    // 0000000068A4: 923D3D3C
	s_add_u32 s82, s82, s61                                    // 0000000068A8: 80523D52
	v_mul_lo_u32 v7, v4, s82                                   // 0000000068AC: D2850007 0000A504
	v_add_u32_e32 v74, v6, v7                                  // 0000000068B4: 68940F06
	v_readlane_b32 s82, v3, 18                                 // 0000000068B8: D2890052 00012503
	s_lshr_b32 s61, s82, 24                                    // 0000000068C0: 8F3D9852
	s_and_b32 s82, s82, 0xffffff                               // 0000000068C4: 8652FF52 00FFFFFF
	s_mul_i32 s82, s82, s71                                    // 0000000068CC: 92524752
	s_mul_i32 s61, s60, s61                                    // 0000000068D0: 923D3D3C
	s_add_u32 s82, s82, s61                                    // 0000000068D4: 80523D52
	v_mul_lo_u32 v6, v5, s82                                   // 0000000068D8: D2850006 0000A505
	v_readlane_b32 s82, v3, 19                                 // 0000000068E0: D2890052 00012703
	s_lshr_b32 s61, s82, 24                                    // 0000000068E8: 8F3D9852
	s_and_b32 s82, s82, 0xffffff                               // 0000000068EC: 8652FF52 00FFFFFF
	s_mul_i32 s82, s82, s71                                    // 0000000068F4: 92524752
	s_mul_i32 s61, s60, s61                                    // 0000000068F8: 923D3D3C
	s_add_u32 s82, s82, s61                                    // 0000000068FC: 80523D52
	v_mul_lo_u32 v7, v4, s82                                   // 000000006900: D2850007 0000A504
	v_add_u32_e32 v75, v6, v7                                  // 000000006908: 68960F06
	v_readlane_b32 s82, v3, 20                                 // 00000000690C: D2890052 00012903
	s_lshr_b32 s61, s82, 24                                    // 000000006914: 8F3D9852
	s_and_b32 s82, s82, 0xffffff                               // 000000006918: 8652FF52 00FFFFFF
	s_mul_i32 s82, s82, s71                                    // 000000006920: 92524752
	s_mul_i32 s61, s60, s61                                    // 000000006924: 923D3D3C
	s_add_u32 s82, s82, s61                                    // 000000006928: 80523D52
	v_mul_lo_u32 v6, v5, s82                                   // 00000000692C: D2850006 0000A505
	v_readlane_b32 s82, v3, 21                                 // 000000006934: D2890052 00012B03
	s_lshr_b32 s61, s82, 24                                    // 00000000693C: 8F3D9852
	s_and_b32 s82, s82, 0xffffff                               // 000000006940: 8652FF52 00FFFFFF
	s_mul_i32 s82, s82, s71                                    // 000000006948: 92524752
	s_mul_i32 s61, s60, s61                                    // 00000000694C: 923D3D3C
	s_add_u32 s82, s82, s61                                    // 000000006950: 80523D52
	v_mul_lo_u32 v7, v4, s82                                   // 000000006954: D2850007 0000A504
	v_add_u32_e32 v76, v6, v7                                  // 00000000695C: 68980F06
	v_readlane_b32 s82, v3, 22                                 // 000000006960: D2890052 00012D03
	s_lshr_b32 s61, s82, 24                                    // 000000006968: 8F3D9852
	s_and_b32 s82, s82, 0xffffff                               // 00000000696C: 8652FF52 00FFFFFF
	s_mul_i32 s82, s82, s71                                    // 000000006974: 92524752
	s_mul_i32 s61, s60, s61                                    // 000000006978: 923D3D3C
	s_add_u32 s82, s82, s61                                    // 00000000697C: 80523D52
	v_mul_lo_u32 v6, v5, s82                                   // 000000006980: D2850006 0000A505
	v_readlane_b32 s82, v3, 23                                 // 000000006988: D2890052 00012F03
	s_lshr_b32 s61, s82, 24                                    // 000000006990: 8F3D9852
	s_and_b32 s82, s82, 0xffffff                               // 000000006994: 8652FF52 00FFFFFF
	s_mul_i32 s82, s82, s71                                    // 00000000699C: 92524752
	s_mul_i32 s61, s60, s61                                    // 0000000069A0: 923D3D3C
	s_add_u32 s82, s82, s61                                    // 0000000069A4: 80523D52
	v_mul_lo_u32 v7, v4, s82                                   // 0000000069A8: D2850007 0000A504
	v_add_u32_e32 v77, v6, v7                                  // 0000000069B0: 689A0F06
	v_readlane_b32 s82, v3, 24                                 // 0000000069B4: D2890052 00013103
	s_lshr_b32 s61, s82, 24                                    // 0000000069BC: 8F3D9852
	s_and_b32 s82, s82, 0xffffff                               // 0000000069C0: 8652FF52 00FFFFFF
	s_mul_i32 s82, s82, s71                                    // 0000000069C8: 92524752
	s_mul_i32 s61, s60, s61                                    // 0000000069CC: 923D3D3C
	s_add_u32 s82, s82, s61                                    // 0000000069D0: 80523D52
	v_mul_lo_u32 v6, v5, s82                                   // 0000000069D4: D2850006 0000A505
	v_readlane_b32 s82, v3, 25                                 // 0000000069DC: D2890052 00013303
	s_lshr_b32 s61, s82, 24                                    // 0000000069E4: 8F3D9852
	s_and_b32 s82, s82, 0xffffff                               // 0000000069E8: 8652FF52 00FFFFFF
	s_mul_i32 s82, s82, s71                                    // 0000000069F0: 92524752
	s_mul_i32 s61, s60, s61                                    // 0000000069F4: 923D3D3C
	s_add_u32 s82, s82, s61                                    // 0000000069F8: 80523D52
	v_mul_lo_u32 v7, v4, s82                                   // 0000000069FC: D2850007 0000A504
	v_add_u32_e32 v78, v6, v7                                  // 000000006A04: 689C0F06
	v_readlane_b32 s82, v3, 26                                 // 000000006A08: D2890052 00013503
	s_lshr_b32 s61, s82, 24                                    // 000000006A10: 8F3D9852
	s_and_b32 s82, s82, 0xffffff                               // 000000006A14: 8652FF52 00FFFFFF
	s_mul_i32 s82, s82, s71                                    // 000000006A1C: 92524752
	s_mul_i32 s61, s60, s61                                    // 000000006A20: 923D3D3C
	s_add_u32 s82, s82, s61                                    // 000000006A24: 80523D52
	v_mul_lo_u32 v6, v5, s82                                   // 000000006A28: D2850006 0000A505
	v_readlane_b32 s82, v3, 27                                 // 000000006A30: D2890052 00013703
	s_lshr_b32 s61, s82, 24                                    // 000000006A38: 8F3D9852
	s_and_b32 s82, s82, 0xffffff                               // 000000006A3C: 8652FF52 00FFFFFF
	s_mul_i32 s82, s82, s71                                    // 000000006A44: 92524752
	s_mul_i32 s61, s60, s61                                    // 000000006A48: 923D3D3C
	s_add_u32 s82, s82, s61                                    // 000000006A4C: 80523D52
	v_mul_lo_u32 v7, v4, s82                                   // 000000006A50: D2850007 0000A504
	v_add_u32_e32 v79, v6, v7                                  // 000000006A58: 689E0F06
	v_readlane_b32 s82, v3, 28                                 // 000000006A5C: D2890052 00013903
	s_lshr_b32 s61, s82, 24                                    // 000000006A64: 8F3D9852
	s_and_b32 s82, s82, 0xffffff                               // 000000006A68: 8652FF52 00FFFFFF
	s_mul_i32 s82, s82, s71                                    // 000000006A70: 92524752
	s_mul_i32 s61, s60, s61                                    // 000000006A74: 923D3D3C
	s_add_u32 s82, s82, s61                                    // 000000006A78: 80523D52
	v_mul_lo_u32 v6, v5, s82                                   // 000000006A7C: D2850006 0000A505
	v_readlane_b32 s82, v3, 29                                 // 000000006A84: D2890052 00013B03
	s_lshr_b32 s61, s82, 24                                    // 000000006A8C: 8F3D9852
	s_and_b32 s82, s82, 0xffffff                               // 000000006A90: 8652FF52 00FFFFFF
	s_mul_i32 s82, s82, s71                                    // 000000006A98: 92524752
	s_mul_i32 s61, s60, s61                                    // 000000006A9C: 923D3D3C
	s_add_u32 s82, s82, s61                                    // 000000006AA0: 80523D52
	v_mul_lo_u32 v7, v4, s82                                   // 000000006AA4: D2850007 0000A504
	v_add_u32_e32 v80, v6, v7                                  // 000000006AAC: 68A00F06
	v_readlane_b32 s82, v3, 30                                 // 000000006AB0: D2890052 00013D03
	s_lshr_b32 s61, s82, 24                                    // 000000006AB8: 8F3D9852
	s_and_b32 s82, s82, 0xffffff                               // 000000006ABC: 8652FF52 00FFFFFF
	s_mul_i32 s82, s82, s71                                    // 000000006AC4: 92524752
	s_mul_i32 s61, s60, s61                                    // 000000006AC8: 923D3D3C
	s_add_u32 s82, s82, s61                                    // 000000006ACC: 80523D52
	v_mul_lo_u32 v6, v5, s82                                   // 000000006AD0: D2850006 0000A505
	v_readlane_b32 s82, v3, 31                                 // 000000006AD8: D2890052 00013F03
	s_lshr_b32 s61, s82, 24                                    // 000000006AE0: 8F3D9852
	s_and_b32 s82, s82, 0xffffff                               // 000000006AE4: 8652FF52 00FFFFFF
	s_mul_i32 s82, s82, s71                                    // 000000006AEC: 92524752
	s_mul_i32 s61, s60, s61                                    // 000000006AF0: 923D3D3C
	s_add_u32 s82, s82, s61                                    // 000000006AF4: 80523D52
	v_mul_lo_u32 v7, v4, s82                                   // 000000006AF8: D2850007 0000A504
	v_add_u32_e32 v81, v6, v7                                  // 000000006B00: 68A20F06
	v_readlane_b32 s82, v3, 32                                 // 000000006B04: D2890052 00014103
	s_lshr_b32 s61, s82, 24                                    // 000000006B0C: 8F3D9852
	s_and_b32 s82, s82, 0xffffff                               // 000000006B10: 8652FF52 00FFFFFF
	s_mul_i32 s82, s82, s71                                    // 000000006B18: 92524752
	s_mul_i32 s61, s60, s61                                    // 000000006B1C: 923D3D3C
	s_add_u32 s82, s82, s61                                    // 000000006B20: 80523D52
	v_mul_lo_u32 v6, v5, s82                                   // 000000006B24: D2850006 0000A505
	v_readlane_b32 s82, v3, 33                                 // 000000006B2C: D2890052 00014303
	s_lshr_b32 s61, s82, 24                                    // 000000006B34: 8F3D9852
	s_and_b32 s82, s82, 0xffffff                               // 000000006B38: 8652FF52 00FFFFFF
	s_mul_i32 s82, s82, s71                                    // 000000006B40: 92524752
	s_mul_i32 s61, s60, s61                                    // 000000006B44: 923D3D3C
	s_add_u32 s82, s82, s61                                    // 000000006B48: 80523D52
	v_mul_lo_u32 v7, v4, s82                                   // 000000006B4C: D2850007 0000A504
	v_add_u32_e32 v82, v6, v7                                  // 000000006B54: 68A40F06
	v_readlane_b32 s82, v3, 34                                 // 000000006B58: D2890052 00014503
	s_lshr_b32 s61, s82, 24                                    // 000000006B60: 8F3D9852
	s_and_b32 s82, s82, 0xffffff                               // 000000006B64: 8652FF52 00FFFFFF
	s_mul_i32 s82, s82, s71                                    // 000000006B6C: 92524752
	s_mul_i32 s61, s60, s61                                    // 000000006B70: 923D3D3C
	s_add_u32 s82, s82, s61                                    // 000000006B74: 80523D52
	v_mul_lo_u32 v6, v5, s82                                   // 000000006B78: D2850006 0000A505
	v_readlane_b32 s82, v3, 35                                 // 000000006B80: D2890052 00014703
	s_lshr_b32 s61, s82, 24                                    // 000000006B88: 8F3D9852
	s_and_b32 s82, s82, 0xffffff                               // 000000006B8C: 8652FF52 00FFFFFF
	s_mul_i32 s82, s82, s71                                    // 000000006B94: 92524752
	s_mul_i32 s61, s60, s61                                    // 000000006B98: 923D3D3C
	s_add_u32 s82, s82, s61                                    // 000000006B9C: 80523D52
	v_mul_lo_u32 v7, v4, s82                                   // 000000006BA0: D2850007 0000A504
	v_add_u32_e32 v83, v6, v7                                  // 000000006BA8: 68A60F06
	v_and_b32_e32 v4, 31, v0                                   // 000000006BAC: 2608009F
	v_lshrrev_b32_e32 v4, 1, v4                                // 000000006BB0: 20080881
	s_cmp_eq_u32 s88, 0                                        // 000000006BB4: BF068058
	s_cselect_b32 s61, 2, 4                                    // 000000006BB8: 853D8482
	v_mul_lo_u32 v4, v4, s61                                   // 000000006BBC: D2850004 00007B04
	v_and_b32_e64 v5, v0, 1                                    // 000000006BC4: D1130005 00010300
	v_add_u32_e32 v4, v4, v5                                   // 000000006BCC: 68080B04
	v_lshlrev_b32_e32 v4, 2, v4                                // 000000006BD0: 24080882
	v_add_u32_e32 v66, v66, v4                                 // 000000006BD4: 68840942
	v_add_u32_e32 v67, v67, v4                                 // 000000006BD8: 68860943
	v_add_u32_e32 v68, v68, v4                                 // 000000006BDC: 68880944
	v_add_u32_e32 v69, v69, v4                                 // 000000006BE0: 688A0945
	v_add_u32_e32 v70, v70, v4                                 // 000000006BE4: 688C0946
	v_add_u32_e32 v71, v71, v4                                 // 000000006BE8: 688E0947
	v_add_u32_e32 v72, v72, v4                                 // 000000006BEC: 68900948
	v_add_u32_e32 v73, v73, v4                                 // 000000006BF0: 68920949
	v_add_u32_e32 v74, v74, v4                                 // 000000006BF4: 6894094A
	v_add_u32_e32 v75, v75, v4                                 // 000000006BF8: 6896094B
	v_add_u32_e32 v76, v76, v4                                 // 000000006BFC: 6898094C
	v_add_u32_e32 v77, v77, v4                                 // 000000006C00: 689A094D
	v_add_u32_e32 v78, v78, v4                                 // 000000006C04: 689C094E
	v_add_u32_e32 v79, v79, v4                                 // 000000006C08: 689E094F
	v_add_u32_e32 v80, v80, v4                                 // 000000006C0C: 68A00950
	v_add_u32_e32 v81, v81, v4                                 // 000000006C10: 68A20951
	v_add_u32_e32 v82, v82, v4                                 // 000000006C14: 68A40952
	v_add_u32_e32 v83, v83, v4                                 // 000000006C18: 68A60953
	s_waitcnt lgkmcnt(0)                                       // 000000006C1C: BF8CC07F
	s_barrier                                                  // 000000006C20: BF8A0000
	ds_read_b32 v88, v21                                       // 000000006C24: D86C0000 58000015
	ds_read_b32 v89, v21 offset:64                             // 000000006C2C: D86C0040 59000015
	ds_read_b32 v90, v21 offset:2176                           // 000000006C34: D86C0880 5A000015
	ds_read_b32 v91, v21 offset:2240                           // 000000006C3C: D86C08C0 5B000015
	ds_read_b32 v92, v21 offset:4352                           // 000000006C44: D86C1100 5C000015
	ds_read_b32 v93, v21 offset:4416                           // 000000006C4C: D86C1140 5D000015
	ds_read_b32 v94, v21 offset:6528                           // 000000006C54: D86C1980 5E000015
	ds_read_b32 v95, v21 offset:6592                           // 000000006C5C: D86C19C0 5F000015
	ds_read_b32 v96, v21 offset:8704                           // 000000006C64: D86C2200 60000015
	ds_read_b32 v97, v21 offset:8768                           // 000000006C6C: D86C2240 61000015
	ds_read_b32 v98, v21 offset:10880                          // 000000006C74: D86C2A80 62000015
	ds_read_b32 v99, v21 offset:10944                          // 000000006C7C: D86C2AC0 63000015
	ds_read_b32 v100, v21 offset:13056                         // 000000006C84: D86C3300 64000015
	ds_read_b32 v101, v21 offset:13120                         // 000000006C8C: D86C3340 65000015
	ds_read_b32 v102, v21 offset:15232                         // 000000006C94: D86C3B80 66000015
	ds_read_b32 v103, v21 offset:15296                         // 000000006C9C: D86C3BC0 67000015
	ds_read_b32 v104, v21 offset:17408                         // 000000006CA4: D86C4400 68000015
	ds_read_b32 v105, v21 offset:17472                         // 000000006CAC: D86C4440 69000015
	s_waitcnt lgkmcnt(0)                                       // 000000006CB4: BF8CC07F
	s_mov_b32 s36, -1                                          // 000000006CB8: BEA400C1
	s_mov_b32 s37, -1                                          // 000000006CBC: BEA500C1
	v_mov_b32_e32 v7, 0                                        // 000000006CC0: 7E0E0280
	s_or_b32 s9, s9, 0x40000                                   // 000000006CC4: 8709FF09 00040000
	s_mov_b64 exec, s[36:37]                                   // 000000006CCC: BEFE0124
	v_mov_b32_e32 v6, v66                                      // 000000006CD0: 7E0C0342
	s_mov_b64 s[60:61], 0                                      // 000000006CD4: BEBC0180
	v_readlane_b32 s82, v3, 0                                  // 000000006CD8: D2890052 00010103
	s_and_b32 s82, s82, 0xffffff                               // 000000006CE0: 8652FF52 00FFFFFF
	s_cmp_lt_u32 s82, s66                                      // 000000006CE8: BF0A4252
	s_cselect_b32 s20, s36, s60                                // 000000006CEC: 85143C24
	v_readlane_b32 s82, v3, 1                                  // 000000006CF0: D2890052 00010303
	s_and_b32 s82, s82, 0xffffff                               // 000000006CF8: 8652FF52 00FFFFFF
	s_cmp_lt_u32 s82, s66                                      // 000000006D00: BF0A4252
	s_cselect_b32 s21, s36, s60                                // 000000006D04: 85153C24
	s_mov_b64 exec, s[20:21]                                   // 000000006D08: BEFE0114
	buffer_store_dword v88, v6, s[8:11], 0 offen               // 000000006D0C: E0701000 80025806
	s_mov_b64 exec, s[36:37]                                   // 000000006D14: BEFE0124
	v_mov_b32_e32 v6, v67                                      // 000000006D18: 7E0C0343
	s_mov_b64 s[60:61], 0                                      // 000000006D1C: BEBC0180
	v_readlane_b32 s82, v3, 2                                  // 000000006D20: D2890052 00010503
	s_and_b32 s82, s82, 0xffffff                               // 000000006D28: 8652FF52 00FFFFFF
	s_cmp_lt_u32 s82, s66                                      // 000000006D30: BF0A4252
	s_cselect_b32 s20, s36, s60                                // 000000006D34: 85143C24
	v_readlane_b32 s82, v3, 3                                  // 000000006D38: D2890052 00010703
	s_and_b32 s82, s82, 0xffffff                               // 000000006D40: 8652FF52 00FFFFFF
	s_cmp_lt_u32 s82, s66                                      // 000000006D48: BF0A4252
	s_cselect_b32 s21, s36, s60                                // 000000006D4C: 85153C24
	s_mov_b64 exec, s[20:21]                                   // 000000006D50: BEFE0114
	buffer_store_dword v89, v6, s[8:11], 0 offen               // 000000006D54: E0701000 80025906
	s_mov_b64 exec, s[36:37]                                   // 000000006D5C: BEFE0124
	v_mov_b32_e32 v6, v68                                      // 000000006D60: 7E0C0344
	s_mov_b64 s[60:61], 0                                      // 000000006D64: BEBC0180
	v_readlane_b32 s82, v3, 4                                  // 000000006D68: D2890052 00010903
	s_and_b32 s82, s82, 0xffffff                               // 000000006D70: 8652FF52 00FFFFFF
	s_cmp_lt_u32 s82, s66                                      // 000000006D78: BF0A4252
	s_cselect_b32 s20, s36, s60                                // 000000006D7C: 85143C24
	v_readlane_b32 s82, v3, 5                                  // 000000006D80: D2890052 00010B03
	s_and_b32 s82, s82, 0xffffff                               // 000000006D88: 8652FF52 00FFFFFF
	s_cmp_lt_u32 s82, s66                                      // 000000006D90: BF0A4252
	s_cselect_b32 s21, s36, s60                                // 000000006D94: 85153C24
	s_mov_b64 exec, s[20:21]                                   // 000000006D98: BEFE0114
	buffer_store_dword v90, v6, s[8:11], 0 offen               // 000000006D9C: E0701000 80025A06
	s_mov_b64 exec, s[36:37]                                   // 000000006DA4: BEFE0124
	v_mov_b32_e32 v6, v69                                      // 000000006DA8: 7E0C0345
	s_mov_b64 s[60:61], 0                                      // 000000006DAC: BEBC0180
	v_readlane_b32 s82, v3, 6                                  // 000000006DB0: D2890052 00010D03
	s_and_b32 s82, s82, 0xffffff                               // 000000006DB8: 8652FF52 00FFFFFF
	s_cmp_lt_u32 s82, s66                                      // 000000006DC0: BF0A4252
	s_cselect_b32 s20, s36, s60                                // 000000006DC4: 85143C24
	v_readlane_b32 s82, v3, 7                                  // 000000006DC8: D2890052 00010F03
	s_and_b32 s82, s82, 0xffffff                               // 000000006DD0: 8652FF52 00FFFFFF
	s_cmp_lt_u32 s82, s66                                      // 000000006DD8: BF0A4252
	s_cselect_b32 s21, s36, s60                                // 000000006DDC: 85153C24
	s_mov_b64 exec, s[20:21]                                   // 000000006DE0: BEFE0114
	buffer_store_dword v91, v6, s[8:11], 0 offen               // 000000006DE4: E0701000 80025B06
	s_mov_b64 exec, s[36:37]                                   // 000000006DEC: BEFE0124
	v_mov_b32_e32 v6, v70                                      // 000000006DF0: 7E0C0346
	s_mov_b64 s[60:61], 0                                      // 000000006DF4: BEBC0180
	v_readlane_b32 s82, v3, 8                                  // 000000006DF8: D2890052 00011103
	s_and_b32 s82, s82, 0xffffff                               // 000000006E00: 8652FF52 00FFFFFF
	s_cmp_lt_u32 s82, s66                                      // 000000006E08: BF0A4252
	s_cselect_b32 s20, s36, s60                                // 000000006E0C: 85143C24
	v_readlane_b32 s82, v3, 9                                  // 000000006E10: D2890052 00011303
	s_and_b32 s82, s82, 0xffffff                               // 000000006E18: 8652FF52 00FFFFFF
	s_cmp_lt_u32 s82, s66                                      // 000000006E20: BF0A4252
	s_cselect_b32 s21, s36, s60                                // 000000006E24: 85153C24
	s_mov_b64 exec, s[20:21]                                   // 000000006E28: BEFE0114
	buffer_store_dword v92, v6, s[8:11], 0 offen               // 000000006E2C: E0701000 80025C06
	s_mov_b64 exec, s[36:37]                                   // 000000006E34: BEFE0124
	v_mov_b32_e32 v6, v71                                      // 000000006E38: 7E0C0347
	s_mov_b64 s[60:61], 0                                      // 000000006E3C: BEBC0180
	v_readlane_b32 s82, v3, 10                                 // 000000006E40: D2890052 00011503
	s_and_b32 s82, s82, 0xffffff                               // 000000006E48: 8652FF52 00FFFFFF
	s_cmp_lt_u32 s82, s66                                      // 000000006E50: BF0A4252
	s_cselect_b32 s20, s36, s60                                // 000000006E54: 85143C24
	v_readlane_b32 s82, v3, 11                                 // 000000006E58: D2890052 00011703
	s_and_b32 s82, s82, 0xffffff                               // 000000006E60: 8652FF52 00FFFFFF
	s_cmp_lt_u32 s82, s66                                      // 000000006E68: BF0A4252
	s_cselect_b32 s21, s36, s60                                // 000000006E6C: 85153C24
	s_mov_b64 exec, s[20:21]                                   // 000000006E70: BEFE0114
	buffer_store_dword v93, v6, s[8:11], 0 offen               // 000000006E74: E0701000 80025D06
	s_mov_b64 exec, s[36:37]                                   // 000000006E7C: BEFE0124
	v_mov_b32_e32 v6, v72                                      // 000000006E80: 7E0C0348
	s_mov_b64 s[60:61], 0                                      // 000000006E84: BEBC0180
	v_readlane_b32 s82, v3, 12                                 // 000000006E88: D2890052 00011903
	s_and_b32 s82, s82, 0xffffff                               // 000000006E90: 8652FF52 00FFFFFF
	s_cmp_lt_u32 s82, s66                                      // 000000006E98: BF0A4252
	s_cselect_b32 s20, s36, s60                                // 000000006E9C: 85143C24
	v_readlane_b32 s82, v3, 13                                 // 000000006EA0: D2890052 00011B03
	s_and_b32 s82, s82, 0xffffff                               // 000000006EA8: 8652FF52 00FFFFFF
	s_cmp_lt_u32 s82, s66                                      // 000000006EB0: BF0A4252
	s_cselect_b32 s21, s36, s60                                // 000000006EB4: 85153C24
	s_mov_b64 exec, s[20:21]                                   // 000000006EB8: BEFE0114
	buffer_store_dword v94, v6, s[8:11], 0 offen               // 000000006EBC: E0701000 80025E06
	s_mov_b64 exec, s[36:37]                                   // 000000006EC4: BEFE0124
	v_mov_b32_e32 v6, v73                                      // 000000006EC8: 7E0C0349
	s_mov_b64 s[60:61], 0                                      // 000000006ECC: BEBC0180
	v_readlane_b32 s82, v3, 14                                 // 000000006ED0: D2890052 00011D03
	s_and_b32 s82, s82, 0xffffff                               // 000000006ED8: 8652FF52 00FFFFFF
	s_cmp_lt_u32 s82, s66                                      // 000000006EE0: BF0A4252
	s_cselect_b32 s20, s36, s60                                // 000000006EE4: 85143C24
	v_readlane_b32 s82, v3, 15                                 // 000000006EE8: D2890052 00011F03
	s_and_b32 s82, s82, 0xffffff                               // 000000006EF0: 8652FF52 00FFFFFF
	s_cmp_lt_u32 s82, s66                                      // 000000006EF8: BF0A4252
	s_cselect_b32 s21, s36, s60                                // 000000006EFC: 85153C24
	s_mov_b64 exec, s[20:21]                                   // 000000006F00: BEFE0114
	buffer_store_dword v95, v6, s[8:11], 0 offen               // 000000006F04: E0701000 80025F06
	s_mov_b64 exec, s[36:37]                                   // 000000006F0C: BEFE0124
	v_mov_b32_e32 v6, v74                                      // 000000006F10: 7E0C034A
	s_mov_b64 s[60:61], 0                                      // 000000006F14: BEBC0180
	v_readlane_b32 s82, v3, 16                                 // 000000006F18: D2890052 00012103
	s_and_b32 s82, s82, 0xffffff                               // 000000006F20: 8652FF52 00FFFFFF
	s_cmp_lt_u32 s82, s66                                      // 000000006F28: BF0A4252
	s_cselect_b32 s20, s36, s60                                // 000000006F2C: 85143C24
	v_readlane_b32 s82, v3, 17                                 // 000000006F30: D2890052 00012303
	s_and_b32 s82, s82, 0xffffff                               // 000000006F38: 8652FF52 00FFFFFF
	s_cmp_lt_u32 s82, s66                                      // 000000006F40: BF0A4252
	s_cselect_b32 s21, s36, s60                                // 000000006F44: 85153C24
	s_mov_b64 exec, s[20:21]                                   // 000000006F48: BEFE0114
	buffer_store_dword v96, v6, s[8:11], 0 offen               // 000000006F4C: E0701000 80026006
	s_mov_b64 exec, s[36:37]                                   // 000000006F54: BEFE0124
	v_mov_b32_e32 v6, v75                                      // 000000006F58: 7E0C034B
	s_mov_b64 s[60:61], 0                                      // 000000006F5C: BEBC0180
	v_readlane_b32 s82, v3, 18                                 // 000000006F60: D2890052 00012503
	s_and_b32 s82, s82, 0xffffff                               // 000000006F68: 8652FF52 00FFFFFF
	s_cmp_lt_u32 s82, s66                                      // 000000006F70: BF0A4252
	s_cselect_b32 s20, s36, s60                                // 000000006F74: 85143C24
	v_readlane_b32 s82, v3, 19                                 // 000000006F78: D2890052 00012703
	s_and_b32 s82, s82, 0xffffff                               // 000000006F80: 8652FF52 00FFFFFF
	s_cmp_lt_u32 s82, s66                                      // 000000006F88: BF0A4252
	s_cselect_b32 s21, s36, s60                                // 000000006F8C: 85153C24
	s_mov_b64 exec, s[20:21]                                   // 000000006F90: BEFE0114
	buffer_store_dword v97, v6, s[8:11], 0 offen               // 000000006F94: E0701000 80026106
	s_mov_b64 exec, s[36:37]                                   // 000000006F9C: BEFE0124
	v_mov_b32_e32 v6, v76                                      // 000000006FA0: 7E0C034C
	s_mov_b64 s[60:61], 0                                      // 000000006FA4: BEBC0180
	v_readlane_b32 s82, v3, 20                                 // 000000006FA8: D2890052 00012903
	s_and_b32 s82, s82, 0xffffff                               // 000000006FB0: 8652FF52 00FFFFFF
	s_cmp_lt_u32 s82, s66                                      // 000000006FB8: BF0A4252
	s_cselect_b32 s20, s36, s60                                // 000000006FBC: 85143C24
	v_readlane_b32 s82, v3, 21                                 // 000000006FC0: D2890052 00012B03
	s_and_b32 s82, s82, 0xffffff                               // 000000006FC8: 8652FF52 00FFFFFF
	s_cmp_lt_u32 s82, s66                                      // 000000006FD0: BF0A4252
	s_cselect_b32 s21, s36, s60                                // 000000006FD4: 85153C24
	s_mov_b64 exec, s[20:21]                                   // 000000006FD8: BEFE0114
	buffer_store_dword v98, v6, s[8:11], 0 offen               // 000000006FDC: E0701000 80026206
	s_mov_b64 exec, s[36:37]                                   // 000000006FE4: BEFE0124
	v_mov_b32_e32 v6, v77                                      // 000000006FE8: 7E0C034D
	s_mov_b64 s[60:61], 0                                      // 000000006FEC: BEBC0180
	v_readlane_b32 s82, v3, 22                                 // 000000006FF0: D2890052 00012D03
	s_and_b32 s82, s82, 0xffffff                               // 000000006FF8: 8652FF52 00FFFFFF
	s_cmp_lt_u32 s82, s66                                      // 000000007000: BF0A4252
	s_cselect_b32 s20, s36, s60                                // 000000007004: 85143C24
	v_readlane_b32 s82, v3, 23                                 // 000000007008: D2890052 00012F03
	s_and_b32 s82, s82, 0xffffff                               // 000000007010: 8652FF52 00FFFFFF
	s_cmp_lt_u32 s82, s66                                      // 000000007018: BF0A4252
	s_cselect_b32 s21, s36, s60                                // 00000000701C: 85153C24
	s_mov_b64 exec, s[20:21]                                   // 000000007020: BEFE0114
	buffer_store_dword v99, v6, s[8:11], 0 offen               // 000000007024: E0701000 80026306
	s_mov_b64 exec, s[36:37]                                   // 00000000702C: BEFE0124
	v_mov_b32_e32 v6, v78                                      // 000000007030: 7E0C034E
	s_mov_b64 s[60:61], 0                                      // 000000007034: BEBC0180
	v_readlane_b32 s82, v3, 24                                 // 000000007038: D2890052 00013103
	s_and_b32 s82, s82, 0xffffff                               // 000000007040: 8652FF52 00FFFFFF
	s_cmp_lt_u32 s82, s66                                      // 000000007048: BF0A4252
	s_cselect_b32 s20, s36, s60                                // 00000000704C: 85143C24
	v_readlane_b32 s82, v3, 25                                 // 000000007050: D2890052 00013303
	s_and_b32 s82, s82, 0xffffff                               // 000000007058: 8652FF52 00FFFFFF
	s_cmp_lt_u32 s82, s66                                      // 000000007060: BF0A4252
	s_cselect_b32 s21, s36, s60                                // 000000007064: 85153C24
	s_mov_b64 exec, s[20:21]                                   // 000000007068: BEFE0114
	buffer_store_dword v100, v6, s[8:11], 0 offen              // 00000000706C: E0701000 80026406
	s_mov_b64 exec, s[36:37]                                   // 000000007074: BEFE0124
	v_mov_b32_e32 v6, v79                                      // 000000007078: 7E0C034F
	s_mov_b64 s[60:61], 0                                      // 00000000707C: BEBC0180
	v_readlane_b32 s82, v3, 26                                 // 000000007080: D2890052 00013503
	s_and_b32 s82, s82, 0xffffff                               // 000000007088: 8652FF52 00FFFFFF
	s_cmp_lt_u32 s82, s66                                      // 000000007090: BF0A4252
	s_cselect_b32 s20, s36, s60                                // 000000007094: 85143C24
	v_readlane_b32 s82, v3, 27                                 // 000000007098: D2890052 00013703
	s_and_b32 s82, s82, 0xffffff                               // 0000000070A0: 8652FF52 00FFFFFF
	s_cmp_lt_u32 s82, s66                                      // 0000000070A8: BF0A4252
	s_cselect_b32 s21, s36, s60                                // 0000000070AC: 85153C24
	s_mov_b64 exec, s[20:21]                                   // 0000000070B0: BEFE0114
	buffer_store_dword v101, v6, s[8:11], 0 offen              // 0000000070B4: E0701000 80026506
	s_mov_b64 exec, s[36:37]                                   // 0000000070BC: BEFE0124
	v_mov_b32_e32 v6, v80                                      // 0000000070C0: 7E0C0350
	s_mov_b64 s[60:61], 0                                      // 0000000070C4: BEBC0180
	v_readlane_b32 s82, v3, 28                                 // 0000000070C8: D2890052 00013903
	s_and_b32 s82, s82, 0xffffff                               // 0000000070D0: 8652FF52 00FFFFFF
	s_cmp_lt_u32 s82, s66                                      // 0000000070D8: BF0A4252
	s_cselect_b32 s20, s36, s60                                // 0000000070DC: 85143C24
	v_readlane_b32 s82, v3, 29                                 // 0000000070E0: D2890052 00013B03
	s_and_b32 s82, s82, 0xffffff                               // 0000000070E8: 8652FF52 00FFFFFF
	s_cmp_lt_u32 s82, s66                                      // 0000000070F0: BF0A4252
	s_cselect_b32 s21, s36, s60                                // 0000000070F4: 85153C24
	s_mov_b64 exec, s[20:21]                                   // 0000000070F8: BEFE0114
	buffer_store_dword v102, v6, s[8:11], 0 offen              // 0000000070FC: E0701000 80026606
	s_mov_b64 exec, s[36:37]                                   // 000000007104: BEFE0124
	v_mov_b32_e32 v6, v81                                      // 000000007108: 7E0C0351
	s_mov_b64 s[60:61], 0                                      // 00000000710C: BEBC0180
	v_readlane_b32 s82, v3, 30                                 // 000000007110: D2890052 00013D03
	s_and_b32 s82, s82, 0xffffff                               // 000000007118: 8652FF52 00FFFFFF
	s_cmp_lt_u32 s82, s66                                      // 000000007120: BF0A4252
	s_cselect_b32 s20, s36, s60                                // 000000007124: 85143C24
	v_readlane_b32 s82, v3, 31                                 // 000000007128: D2890052 00013F03
	s_and_b32 s82, s82, 0xffffff                               // 000000007130: 8652FF52 00FFFFFF
	s_cmp_lt_u32 s82, s66                                      // 000000007138: BF0A4252
	s_cselect_b32 s21, s36, s60                                // 00000000713C: 85153C24
	s_mov_b64 exec, s[20:21]                                   // 000000007140: BEFE0114
	buffer_store_dword v103, v6, s[8:11], 0 offen              // 000000007144: E0701000 80026706
	s_mov_b64 exec, s[36:37]                                   // 00000000714C: BEFE0124
	v_mov_b32_e32 v6, v82                                      // 000000007150: 7E0C0352
	s_mov_b64 s[60:61], 0                                      // 000000007154: BEBC0180
	v_readlane_b32 s82, v3, 32                                 // 000000007158: D2890052 00014103
	s_and_b32 s82, s82, 0xffffff                               // 000000007160: 8652FF52 00FFFFFF
	s_cmp_lt_u32 s82, s66                                      // 000000007168: BF0A4252
	s_cselect_b32 s20, s36, s60                                // 00000000716C: 85143C24
	v_readlane_b32 s82, v3, 33                                 // 000000007170: D2890052 00014303
	s_and_b32 s82, s82, 0xffffff                               // 000000007178: 8652FF52 00FFFFFF
	s_cmp_lt_u32 s82, s66                                      // 000000007180: BF0A4252
	s_cselect_b32 s21, s36, s60                                // 000000007184: 85153C24
	s_mov_b64 exec, s[20:21]                                   // 000000007188: BEFE0114
	buffer_store_dword v104, v6, s[8:11], 0 offen              // 00000000718C: E0701000 80026806
	s_mov_b64 exec, s[36:37]                                   // 000000007194: BEFE0124
	v_mov_b32_e32 v6, v83                                      // 000000007198: 7E0C0353
	s_mov_b64 s[60:61], 0                                      // 00000000719C: BEBC0180
	v_readlane_b32 s82, v3, 34                                 // 0000000071A0: D2890052 00014503
	s_and_b32 s82, s82, 0xffffff                               // 0000000071A8: 8652FF52 00FFFFFF
	s_cmp_lt_u32 s82, s66                                      // 0000000071B0: BF0A4252
	s_cselect_b32 s20, s36, s60                                // 0000000071B4: 85143C24
	v_readlane_b32 s82, v3, 35                                 // 0000000071B8: D2890052 00014703
	s_and_b32 s82, s82, 0xffffff                               // 0000000071C0: 8652FF52 00FFFFFF
	s_cmp_lt_u32 s82, s66                                      // 0000000071C8: BF0A4252
	s_cselect_b32 s21, s36, s60                                // 0000000071CC: 85153C24
	s_mov_b64 exec, s[20:21]                                   // 0000000071D0: BEFE0114
	buffer_store_dword v105, v6, s[8:11], 0 offen              // 0000000071D4: E0701000 80026906
	s_mov_b64 exec, s[36:37]                                   // 0000000071DC: BEFE0124
	s_branch label_2F7B                                        // 0000000071E0: BF821D7F

00000000000071e4 <label_11F9>:
	ds_write_b64 v20, v[88:89]                                 // 0000000071E4: D89A0000 00005814
	ds_write_b64 v20, v[92:93] offset:2176                     // 0000000071EC: D89A0880 00005C14
	ds_write_b64 v20, v[96:97] offset:4352                     // 0000000071F4: D89A1100 00006014
	ds_write_b64 v20, v[100:101] offset:6528                   // 0000000071FC: D89A1980 00006414
	ds_write_b64 v20, v[104:105] offset:8704                   // 000000007204: D89A2200 00006814
	ds_write_b64 v20, v[108:109] offset:10880                  // 00000000720C: D89A2A80 00006C14
	ds_write_b64 v20, v[112:113] offset:13056                  // 000000007214: D89A3300 00007014
	ds_write_b64 v20, v[116:117] offset:15232                  // 00000000721C: D89A3B80 00007414
	ds_write_b64 v20, v[120:121] offset:17408                  // 000000007224: D89A4400 00007814
	v_lshrrev_b32_e32 v4, 5, v0                                // 00000000722C: 20080085
	v_xor_b32_e32 v5, 1, v4                                    // 000000007230: 2A0A0881
	s_mul_i32 s60, s65, 2                                      // 000000007234: 923C8241
	s_cmp_eq_u32 s88, 0                                        // 000000007238: BF068058
	s_cselect_b32 s61, 1, 4                                    // 00000000723C: 853D8481
	s_mul_i32 s60, s61, s60                                    // 000000007240: 923C3C3D
	v_readlane_b32 s82, v3, 0                                  // 000000007244: D2890052 00010103
	s_lshr_b32 s61, s82, 24                                    // 00000000724C: 8F3D9852
	s_and_b32 s82, s82, 0xffffff                               // 000000007250: 8652FF52 00FFFFFF
	s_mul_i32 s82, s82, s71                                    // 000000007258: 92524752
	s_mul_i32 s61, s60, s61                                    // 00000000725C: 923D3D3C
	s_add_u32 s82, s82, s61                                    // 000000007260: 80523D52
	v_mul_lo_u32 v6, v5, s82                                   // 000000007264: D2850006 0000A505
	v_readlane_b32 s82, v3, 1                                  // 00000000726C: D2890052 00010303
	s_lshr_b32 s61, s82, 24                                    // 000000007274: 8F3D9852
	s_and_b32 s82, s82, 0xffffff                               // 000000007278: 8652FF52 00FFFFFF
	s_mul_i32 s82, s82, s71                                    // 000000007280: 92524752
	s_mul_i32 s61, s60, s61                                    // 000000007284: 923D3D3C
	s_add_u32 s82, s82, s61                                    // 000000007288: 80523D52
	v_mul_lo_u32 v7, v4, s82                                   // 00000000728C: D2850007 0000A504
	v_add_u32_e32 v66, v6, v7                                  // 000000007294: 68840F06
	v_readlane_b32 s82, v3, 2                                  // 000000007298: D2890052 00010503
	s_lshr_b32 s61, s82, 24                                    // 0000000072A0: 8F3D9852
	s_and_b32 s82, s82, 0xffffff                               // 0000000072A4: 8652FF52 00FFFFFF
	s_mul_i32 s82, s82, s71                                    // 0000000072AC: 92524752
	s_mul_i32 s61, s60, s61                                    // 0000000072B0: 923D3D3C
	s_add_u32 s82, s82, s61                                    // 0000000072B4: 80523D52
	v_mul_lo_u32 v6, v5, s82                                   // 0000000072B8: D2850006 0000A505
	v_readlane_b32 s82, v3, 3                                  // 0000000072C0: D2890052 00010703
	s_lshr_b32 s61, s82, 24                                    // 0000000072C8: 8F3D9852
	s_and_b32 s82, s82, 0xffffff                               // 0000000072CC: 8652FF52 00FFFFFF
	s_mul_i32 s82, s82, s71                                    // 0000000072D4: 92524752
	s_mul_i32 s61, s60, s61                                    // 0000000072D8: 923D3D3C
	s_add_u32 s82, s82, s61                                    // 0000000072DC: 80523D52
	v_mul_lo_u32 v7, v4, s82                                   // 0000000072E0: D2850007 0000A504
	v_add_u32_e32 v67, v6, v7                                  // 0000000072E8: 68860F06
	v_readlane_b32 s82, v3, 4                                  // 0000000072EC: D2890052 00010903
	s_lshr_b32 s61, s82, 24                                    // 0000000072F4: 8F3D9852
	s_and_b32 s82, s82, 0xffffff                               // 0000000072F8: 8652FF52 00FFFFFF
	s_mul_i32 s82, s82, s71                                    // 000000007300: 92524752
	s_mul_i32 s61, s60, s61                                    // 000000007304: 923D3D3C
	s_add_u32 s82, s82, s61                                    // 000000007308: 80523D52
	v_mul_lo_u32 v6, v5, s82                                   // 00000000730C: D2850006 0000A505
	v_readlane_b32 s82, v3, 5                                  // 000000007314: D2890052 00010B03
	s_lshr_b32 s61, s82, 24                                    // 00000000731C: 8F3D9852
	s_and_b32 s82, s82, 0xffffff                               // 000000007320: 8652FF52 00FFFFFF
	s_mul_i32 s82, s82, s71                                    // 000000007328: 92524752
	s_mul_i32 s61, s60, s61                                    // 00000000732C: 923D3D3C
	s_add_u32 s82, s82, s61                                    // 000000007330: 80523D52
	v_mul_lo_u32 v7, v4, s82                                   // 000000007334: D2850007 0000A504
	v_add_u32_e32 v68, v6, v7                                  // 00000000733C: 68880F06
	v_readlane_b32 s82, v3, 6                                  // 000000007340: D2890052 00010D03
	s_lshr_b32 s61, s82, 24                                    // 000000007348: 8F3D9852
	s_and_b32 s82, s82, 0xffffff                               // 00000000734C: 8652FF52 00FFFFFF
	s_mul_i32 s82, s82, s71                                    // 000000007354: 92524752
	s_mul_i32 s61, s60, s61                                    // 000000007358: 923D3D3C
	s_add_u32 s82, s82, s61                                    // 00000000735C: 80523D52
	v_mul_lo_u32 v6, v5, s82                                   // 000000007360: D2850006 0000A505
	v_readlane_b32 s82, v3, 7                                  // 000000007368: D2890052 00010F03
	s_lshr_b32 s61, s82, 24                                    // 000000007370: 8F3D9852
	s_and_b32 s82, s82, 0xffffff                               // 000000007374: 8652FF52 00FFFFFF
	s_mul_i32 s82, s82, s71                                    // 00000000737C: 92524752
	s_mul_i32 s61, s60, s61                                    // 000000007380: 923D3D3C
	s_add_u32 s82, s82, s61                                    // 000000007384: 80523D52
	v_mul_lo_u32 v7, v4, s82                                   // 000000007388: D2850007 0000A504
	v_add_u32_e32 v69, v6, v7                                  // 000000007390: 688A0F06
	v_readlane_b32 s82, v3, 8                                  // 000000007394: D2890052 00011103
	s_lshr_b32 s61, s82, 24                                    // 00000000739C: 8F3D9852
	s_and_b32 s82, s82, 0xffffff                               // 0000000073A0: 8652FF52 00FFFFFF
	s_mul_i32 s82, s82, s71                                    // 0000000073A8: 92524752
	s_mul_i32 s61, s60, s61                                    // 0000000073AC: 923D3D3C
	s_add_u32 s82, s82, s61                                    // 0000000073B0: 80523D52
	v_mul_lo_u32 v6, v5, s82                                   // 0000000073B4: D2850006 0000A505
	v_readlane_b32 s82, v3, 9                                  // 0000000073BC: D2890052 00011303
	s_lshr_b32 s61, s82, 24                                    // 0000000073C4: 8F3D9852
	s_and_b32 s82, s82, 0xffffff                               // 0000000073C8: 8652FF52 00FFFFFF
	s_mul_i32 s82, s82, s71                                    // 0000000073D0: 92524752
	s_mul_i32 s61, s60, s61                                    // 0000000073D4: 923D3D3C
	s_add_u32 s82, s82, s61                                    // 0000000073D8: 80523D52
	v_mul_lo_u32 v7, v4, s82                                   // 0000000073DC: D2850007 0000A504
	v_add_u32_e32 v70, v6, v7                                  // 0000000073E4: 688C0F06
	v_readlane_b32 s82, v3, 10                                 // 0000000073E8: D2890052 00011503
	s_lshr_b32 s61, s82, 24                                    // 0000000073F0: 8F3D9852
	s_and_b32 s82, s82, 0xffffff                               // 0000000073F4: 8652FF52 00FFFFFF
	s_mul_i32 s82, s82, s71                                    // 0000000073FC: 92524752
	s_mul_i32 s61, s60, s61                                    // 000000007400: 923D3D3C
	s_add_u32 s82, s82, s61                                    // 000000007404: 80523D52
	v_mul_lo_u32 v6, v5, s82                                   // 000000007408: D2850006 0000A505
	v_readlane_b32 s82, v3, 11                                 // 000000007410: D2890052 00011703
	s_lshr_b32 s61, s82, 24                                    // 000000007418: 8F3D9852
	s_and_b32 s82, s82, 0xffffff                               // 00000000741C: 8652FF52 00FFFFFF
	s_mul_i32 s82, s82, s71                                    // 000000007424: 92524752
	s_mul_i32 s61, s60, s61                                    // 000000007428: 923D3D3C
	s_add_u32 s82, s82, s61                                    // 00000000742C: 80523D52
	v_mul_lo_u32 v7, v4, s82                                   // 000000007430: D2850007 0000A504
	v_add_u32_e32 v71, v6, v7                                  // 000000007438: 688E0F06
	v_readlane_b32 s82, v3, 12                                 // 00000000743C: D2890052 00011903
	s_lshr_b32 s61, s82, 24                                    // 000000007444: 8F3D9852
	s_and_b32 s82, s82, 0xffffff                               // 000000007448: 8652FF52 00FFFFFF
	s_mul_i32 s82, s82, s71                                    // 000000007450: 92524752
	s_mul_i32 s61, s60, s61                                    // 000000007454: 923D3D3C
	s_add_u32 s82, s82, s61                                    // 000000007458: 80523D52
	v_mul_lo_u32 v6, v5, s82                                   // 00000000745C: D2850006 0000A505
	v_readlane_b32 s82, v3, 13                                 // 000000007464: D2890052 00011B03
	s_lshr_b32 s61, s82, 24                                    // 00000000746C: 8F3D9852
	s_and_b32 s82, s82, 0xffffff                               // 000000007470: 8652FF52 00FFFFFF
	s_mul_i32 s82, s82, s71                                    // 000000007478: 92524752
	s_mul_i32 s61, s60, s61                                    // 00000000747C: 923D3D3C
	s_add_u32 s82, s82, s61                                    // 000000007480: 80523D52
	v_mul_lo_u32 v7, v4, s82                                   // 000000007484: D2850007 0000A504
	v_add_u32_e32 v72, v6, v7                                  // 00000000748C: 68900F06
	v_readlane_b32 s82, v3, 14                                 // 000000007490: D2890052 00011D03
	s_lshr_b32 s61, s82, 24                                    // 000000007498: 8F3D9852
	s_and_b32 s82, s82, 0xffffff                               // 00000000749C: 8652FF52 00FFFFFF
	s_mul_i32 s82, s82, s71                                    // 0000000074A4: 92524752
	s_mul_i32 s61, s60, s61                                    // 0000000074A8: 923D3D3C
	s_add_u32 s82, s82, s61                                    // 0000000074AC: 80523D52
	v_mul_lo_u32 v6, v5, s82                                   // 0000000074B0: D2850006 0000A505
	v_readlane_b32 s82, v3, 15                                 // 0000000074B8: D2890052 00011F03
	s_lshr_b32 s61, s82, 24                                    // 0000000074C0: 8F3D9852
	s_and_b32 s82, s82, 0xffffff                               // 0000000074C4: 8652FF52 00FFFFFF
	s_mul_i32 s82, s82, s71                                    // 0000000074CC: 92524752
	s_mul_i32 s61, s60, s61                                    // 0000000074D0: 923D3D3C
	s_add_u32 s82, s82, s61                                    // 0000000074D4: 80523D52
	v_mul_lo_u32 v7, v4, s82                                   // 0000000074D8: D2850007 0000A504
	v_add_u32_e32 v73, v6, v7                                  // 0000000074E0: 68920F06
	v_readlane_b32 s82, v3, 16                                 // 0000000074E4: D2890052 00012103
	s_lshr_b32 s61, s82, 24                                    // 0000000074EC: 8F3D9852
	s_and_b32 s82, s82, 0xffffff                               // 0000000074F0: 8652FF52 00FFFFFF
	s_mul_i32 s82, s82, s71                                    // 0000000074F8: 92524752
	s_mul_i32 s61, s60, s61                                    // 0000000074FC: 923D3D3C
	s_add_u32 s82, s82, s61                                    // 000000007500: 80523D52
	v_mul_lo_u32 v6, v5, s82                                   // 000000007504: D2850006 0000A505
	v_readlane_b32 s82, v3, 17                                 // 00000000750C: D2890052 00012303
	s_lshr_b32 s61, s82, 24                                    // 000000007514: 8F3D9852
	s_and_b32 s82, s82, 0xffffff                               // 000000007518: 8652FF52 00FFFFFF
	s_mul_i32 s82, s82, s71                                    // 000000007520: 92524752
	s_mul_i32 s61, s60, s61                                    // 000000007524: 923D3D3C
	s_add_u32 s82, s82, s61                                    // 000000007528: 80523D52
	v_mul_lo_u32 v7, v4, s82                                   // 00000000752C: D2850007 0000A504
	v_add_u32_e32 v74, v6, v7                                  // 000000007534: 68940F06
	v_readlane_b32 s82, v3, 18                                 // 000000007538: D2890052 00012503
	s_lshr_b32 s61, s82, 24                                    // 000000007540: 8F3D9852
	s_and_b32 s82, s82, 0xffffff                               // 000000007544: 8652FF52 00FFFFFF
	s_mul_i32 s82, s82, s71                                    // 00000000754C: 92524752
	s_mul_i32 s61, s60, s61                                    // 000000007550: 923D3D3C
	s_add_u32 s82, s82, s61                                    // 000000007554: 80523D52
	v_mul_lo_u32 v6, v5, s82                                   // 000000007558: D2850006 0000A505
	v_readlane_b32 s82, v3, 19                                 // 000000007560: D2890052 00012703
	s_lshr_b32 s61, s82, 24                                    // 000000007568: 8F3D9852
	s_and_b32 s82, s82, 0xffffff                               // 00000000756C: 8652FF52 00FFFFFF
	s_mul_i32 s82, s82, s71                                    // 000000007574: 92524752
	s_mul_i32 s61, s60, s61                                    // 000000007578: 923D3D3C
	s_add_u32 s82, s82, s61                                    // 00000000757C: 80523D52
	v_mul_lo_u32 v7, v4, s82                                   // 000000007580: D2850007 0000A504
	v_add_u32_e32 v75, v6, v7                                  // 000000007588: 68960F06
	v_readlane_b32 s82, v3, 20                                 // 00000000758C: D2890052 00012903
	s_lshr_b32 s61, s82, 24                                    // 000000007594: 8F3D9852
	s_and_b32 s82, s82, 0xffffff                               // 000000007598: 8652FF52 00FFFFFF
	s_mul_i32 s82, s82, s71                                    // 0000000075A0: 92524752
	s_mul_i32 s61, s60, s61                                    // 0000000075A4: 923D3D3C
	s_add_u32 s82, s82, s61                                    // 0000000075A8: 80523D52
	v_mul_lo_u32 v6, v5, s82                                   // 0000000075AC: D2850006 0000A505
	v_readlane_b32 s82, v3, 21                                 // 0000000075B4: D2890052 00012B03
	s_lshr_b32 s61, s82, 24                                    // 0000000075BC: 8F3D9852
	s_and_b32 s82, s82, 0xffffff                               // 0000000075C0: 8652FF52 00FFFFFF
	s_mul_i32 s82, s82, s71                                    // 0000000075C8: 92524752
	s_mul_i32 s61, s60, s61                                    // 0000000075CC: 923D3D3C
	s_add_u32 s82, s82, s61                                    // 0000000075D0: 80523D52
	v_mul_lo_u32 v7, v4, s82                                   // 0000000075D4: D2850007 0000A504
	v_add_u32_e32 v76, v6, v7                                  // 0000000075DC: 68980F06
	v_readlane_b32 s82, v3, 22                                 // 0000000075E0: D2890052 00012D03
	s_lshr_b32 s61, s82, 24                                    // 0000000075E8: 8F3D9852
	s_and_b32 s82, s82, 0xffffff                               // 0000000075EC: 8652FF52 00FFFFFF
	s_mul_i32 s82, s82, s71                                    // 0000000075F4: 92524752
	s_mul_i32 s61, s60, s61                                    // 0000000075F8: 923D3D3C
	s_add_u32 s82, s82, s61                                    // 0000000075FC: 80523D52
	v_mul_lo_u32 v6, v5, s82                                   // 000000007600: D2850006 0000A505
	v_readlane_b32 s82, v3, 23                                 // 000000007608: D2890052 00012F03
	s_lshr_b32 s61, s82, 24                                    // 000000007610: 8F3D9852
	s_and_b32 s82, s82, 0xffffff                               // 000000007614: 8652FF52 00FFFFFF
	s_mul_i32 s82, s82, s71                                    // 00000000761C: 92524752
	s_mul_i32 s61, s60, s61                                    // 000000007620: 923D3D3C
	s_add_u32 s82, s82, s61                                    // 000000007624: 80523D52
	v_mul_lo_u32 v7, v4, s82                                   // 000000007628: D2850007 0000A504
	v_add_u32_e32 v77, v6, v7                                  // 000000007630: 689A0F06
	v_readlane_b32 s82, v3, 24                                 // 000000007634: D2890052 00013103
	s_lshr_b32 s61, s82, 24                                    // 00000000763C: 8F3D9852
	s_and_b32 s82, s82, 0xffffff                               // 000000007640: 8652FF52 00FFFFFF
	s_mul_i32 s82, s82, s71                                    // 000000007648: 92524752
	s_mul_i32 s61, s60, s61                                    // 00000000764C: 923D3D3C
	s_add_u32 s82, s82, s61                                    // 000000007650: 80523D52
	v_mul_lo_u32 v6, v5, s82                                   // 000000007654: D2850006 0000A505
	v_readlane_b32 s82, v3, 25                                 // 00000000765C: D2890052 00013303
	s_lshr_b32 s61, s82, 24                                    // 000000007664: 8F3D9852
	s_and_b32 s82, s82, 0xffffff                               // 000000007668: 8652FF52 00FFFFFF
	s_mul_i32 s82, s82, s71                                    // 000000007670: 92524752
	s_mul_i32 s61, s60, s61                                    // 000000007674: 923D3D3C
	s_add_u32 s82, s82, s61                                    // 000000007678: 80523D52
	v_mul_lo_u32 v7, v4, s82                                   // 00000000767C: D2850007 0000A504
	v_add_u32_e32 v78, v6, v7                                  // 000000007684: 689C0F06
	v_readlane_b32 s82, v3, 26                                 // 000000007688: D2890052 00013503
	s_lshr_b32 s61, s82, 24                                    // 000000007690: 8F3D9852
	s_and_b32 s82, s82, 0xffffff                               // 000000007694: 8652FF52 00FFFFFF
	s_mul_i32 s82, s82, s71                                    // 00000000769C: 92524752
	s_mul_i32 s61, s60, s61                                    // 0000000076A0: 923D3D3C
	s_add_u32 s82, s82, s61                                    // 0000000076A4: 80523D52
	v_mul_lo_u32 v6, v5, s82                                   // 0000000076A8: D2850006 0000A505
	v_readlane_b32 s82, v3, 27                                 // 0000000076B0: D2890052 00013703
	s_lshr_b32 s61, s82, 24                                    // 0000000076B8: 8F3D9852
	s_and_b32 s82, s82, 0xffffff                               // 0000000076BC: 8652FF52 00FFFFFF
	s_mul_i32 s82, s82, s71                                    // 0000000076C4: 92524752
	s_mul_i32 s61, s60, s61                                    // 0000000076C8: 923D3D3C
	s_add_u32 s82, s82, s61                                    // 0000000076CC: 80523D52
	v_mul_lo_u32 v7, v4, s82                                   // 0000000076D0: D2850007 0000A504
	v_add_u32_e32 v79, v6, v7                                  // 0000000076D8: 689E0F06
	v_readlane_b32 s82, v3, 28                                 // 0000000076DC: D2890052 00013903
	s_lshr_b32 s61, s82, 24                                    // 0000000076E4: 8F3D9852
	s_and_b32 s82, s82, 0xffffff                               // 0000000076E8: 8652FF52 00FFFFFF
	s_mul_i32 s82, s82, s71                                    // 0000000076F0: 92524752
	s_mul_i32 s61, s60, s61                                    // 0000000076F4: 923D3D3C
	s_add_u32 s82, s82, s61                                    // 0000000076F8: 80523D52
	v_mul_lo_u32 v6, v5, s82                                   // 0000000076FC: D2850006 0000A505
	v_readlane_b32 s82, v3, 29                                 // 000000007704: D2890052 00013B03
	s_lshr_b32 s61, s82, 24                                    // 00000000770C: 8F3D9852
	s_and_b32 s82, s82, 0xffffff                               // 000000007710: 8652FF52 00FFFFFF
	s_mul_i32 s82, s82, s71                                    // 000000007718: 92524752
	s_mul_i32 s61, s60, s61                                    // 00000000771C: 923D3D3C
	s_add_u32 s82, s82, s61                                    // 000000007720: 80523D52
	v_mul_lo_u32 v7, v4, s82                                   // 000000007724: D2850007 0000A504
	v_add_u32_e32 v80, v6, v7                                  // 00000000772C: 68A00F06
	v_readlane_b32 s82, v3, 30                                 // 000000007730: D2890052 00013D03
	s_lshr_b32 s61, s82, 24                                    // 000000007738: 8F3D9852
	s_and_b32 s82, s82, 0xffffff                               // 00000000773C: 8652FF52 00FFFFFF
	s_mul_i32 s82, s82, s71                                    // 000000007744: 92524752
	s_mul_i32 s61, s60, s61                                    // 000000007748: 923D3D3C
	s_add_u32 s82, s82, s61                                    // 00000000774C: 80523D52
	v_mul_lo_u32 v6, v5, s82                                   // 000000007750: D2850006 0000A505
	v_readlane_b32 s82, v3, 31                                 // 000000007758: D2890052 00013F03
	s_lshr_b32 s61, s82, 24                                    // 000000007760: 8F3D9852
	s_and_b32 s82, s82, 0xffffff                               // 000000007764: 8652FF52 00FFFFFF
	s_mul_i32 s82, s82, s71                                    // 00000000776C: 92524752
	s_mul_i32 s61, s60, s61                                    // 000000007770: 923D3D3C
	s_add_u32 s82, s82, s61                                    // 000000007774: 80523D52
	v_mul_lo_u32 v7, v4, s82                                   // 000000007778: D2850007 0000A504
	v_add_u32_e32 v81, v6, v7                                  // 000000007780: 68A20F06
	v_readlane_b32 s82, v3, 32                                 // 000000007784: D2890052 00014103
	s_lshr_b32 s61, s82, 24                                    // 00000000778C: 8F3D9852
	s_and_b32 s82, s82, 0xffffff                               // 000000007790: 8652FF52 00FFFFFF
	s_mul_i32 s82, s82, s71                                    // 000000007798: 92524752
	s_mul_i32 s61, s60, s61                                    // 00000000779C: 923D3D3C
	s_add_u32 s82, s82, s61                                    // 0000000077A0: 80523D52
	v_mul_lo_u32 v6, v5, s82                                   // 0000000077A4: D2850006 0000A505
	v_readlane_b32 s82, v3, 33                                 // 0000000077AC: D2890052 00014303
	s_lshr_b32 s61, s82, 24                                    // 0000000077B4: 8F3D9852
	s_and_b32 s82, s82, 0xffffff                               // 0000000077B8: 8652FF52 00FFFFFF
	s_mul_i32 s82, s82, s71                                    // 0000000077C0: 92524752
	s_mul_i32 s61, s60, s61                                    // 0000000077C4: 923D3D3C
	s_add_u32 s82, s82, s61                                    // 0000000077C8: 80523D52
	v_mul_lo_u32 v7, v4, s82                                   // 0000000077CC: D2850007 0000A504
	v_add_u32_e32 v82, v6, v7                                  // 0000000077D4: 68A40F06
	v_readlane_b32 s82, v3, 34                                 // 0000000077D8: D2890052 00014503
	s_lshr_b32 s61, s82, 24                                    // 0000000077E0: 8F3D9852
	s_and_b32 s82, s82, 0xffffff                               // 0000000077E4: 8652FF52 00FFFFFF
	s_mul_i32 s82, s82, s71                                    // 0000000077EC: 92524752
	s_mul_i32 s61, s60, s61                                    // 0000000077F0: 923D3D3C
	s_add_u32 s82, s82, s61                                    // 0000000077F4: 80523D52
	v_mul_lo_u32 v6, v5, s82                                   // 0000000077F8: D2850006 0000A505
	v_readlane_b32 s82, v3, 35                                 // 000000007800: D2890052 00014703
	s_lshr_b32 s61, s82, 24                                    // 000000007808: 8F3D9852
	s_and_b32 s82, s82, 0xffffff                               // 00000000780C: 8652FF52 00FFFFFF
	s_mul_i32 s82, s82, s71                                    // 000000007814: 92524752
	s_mul_i32 s61, s60, s61                                    // 000000007818: 923D3D3C
	s_add_u32 s82, s82, s61                                    // 00000000781C: 80523D52
	v_mul_lo_u32 v7, v4, s82                                   // 000000007820: D2850007 0000A504
	v_add_u32_e32 v83, v6, v7                                  // 000000007828: 68A60F06
	v_and_b32_e32 v4, 31, v0                                   // 00000000782C: 2608009F
	v_lshrrev_b32_e32 v4, 1, v4                                // 000000007830: 20080881
	s_cmp_eq_u32 s88, 0                                        // 000000007834: BF068058
	s_cselect_b32 s61, 2, 4                                    // 000000007838: 853D8482
	v_mul_lo_u32 v4, v4, s61                                   // 00000000783C: D2850004 00007B04
	v_and_b32_e64 v5, v0, 1                                    // 000000007844: D1130005 00010300
	v_add_u32_e32 v4, v4, v5                                   // 00000000784C: 68080B04
	v_lshlrev_b32_e32 v4, 2, v4                                // 000000007850: 24080882
	v_add_u32_e32 v66, v66, v4                                 // 000000007854: 68840942
	v_add_u32_e32 v67, v67, v4                                 // 000000007858: 68860943
	v_add_u32_e32 v68, v68, v4                                 // 00000000785C: 68880944
	v_add_u32_e32 v69, v69, v4                                 // 000000007860: 688A0945
	v_add_u32_e32 v70, v70, v4                                 // 000000007864: 688C0946
	v_add_u32_e32 v71, v71, v4                                 // 000000007868: 688E0947
	v_add_u32_e32 v72, v72, v4                                 // 00000000786C: 68900948
	v_add_u32_e32 v73, v73, v4                                 // 000000007870: 68920949
	v_add_u32_e32 v74, v74, v4                                 // 000000007874: 6894094A
	v_add_u32_e32 v75, v75, v4                                 // 000000007878: 6896094B
	v_add_u32_e32 v76, v76, v4                                 // 00000000787C: 6898094C
	v_add_u32_e32 v77, v77, v4                                 // 000000007880: 689A094D
	v_add_u32_e32 v78, v78, v4                                 // 000000007884: 689C094E
	v_add_u32_e32 v79, v79, v4                                 // 000000007888: 689E094F
	v_add_u32_e32 v80, v80, v4                                 // 00000000788C: 68A00950
	v_add_u32_e32 v81, v81, v4                                 // 000000007890: 68A20951
	v_add_u32_e32 v82, v82, v4                                 // 000000007894: 68A40952
	v_add_u32_e32 v83, v83, v4                                 // 000000007898: 68A60953
	s_waitcnt lgkmcnt(0)                                       // 00000000789C: BF8CC07F
	s_barrier                                                  // 0000000078A0: BF8A0000
	ds_read_b32 v88, v21                                       // 0000000078A4: D86C0000 58000015
	ds_read_b32 v89, v21 offset:64                             // 0000000078AC: D86C0040 59000015
	ds_read_b32 v92, v21 offset:2176                           // 0000000078B4: D86C0880 5C000015
	ds_read_b32 v93, v21 offset:2240                           // 0000000078BC: D86C08C0 5D000015
	ds_read_b32 v96, v21 offset:4352                           // 0000000078C4: D86C1100 60000015
	ds_read_b32 v97, v21 offset:4416                           // 0000000078CC: D86C1140 61000015
	ds_read_b32 v100, v21 offset:6528                          // 0000000078D4: D86C1980 64000015
	ds_read_b32 v101, v21 offset:6592                          // 0000000078DC: D86C19C0 65000015
	ds_read_b32 v104, v21 offset:8704                          // 0000000078E4: D86C2200 68000015
	ds_read_b32 v105, v21 offset:8768                          // 0000000078EC: D86C2240 69000015
	ds_read_b32 v108, v21 offset:10880                         // 0000000078F4: D86C2A80 6C000015
	ds_read_b32 v109, v21 offset:10944                         // 0000000078FC: D86C2AC0 6D000015
	ds_read_b32 v112, v21 offset:13056                         // 000000007904: D86C3300 70000015
	ds_read_b32 v113, v21 offset:13120                         // 00000000790C: D86C3340 71000015
	ds_read_b32 v116, v21 offset:15232                         // 000000007914: D86C3B80 74000015
	ds_read_b32 v117, v21 offset:15296                         // 00000000791C: D86C3BC0 75000015
	ds_read_b32 v120, v21 offset:17408                         // 000000007924: D86C4400 78000015
	ds_read_b32 v121, v21 offset:17472                         // 00000000792C: D86C4440 79000015
	s_waitcnt lgkmcnt(0)                                       // 000000007934: BF8CC07F
	s_mov_b32 s36, -1                                          // 000000007938: BEA400C1
	s_mov_b32 s37, -1                                          // 00000000793C: BEA500C1
	v_mov_b32_e32 v7, 0                                        // 000000007940: 7E0E0280
	s_mov_b64 exec, s[36:37]                                   // 000000007944: BEFE0124
	v_mov_b32_e32 v6, v66                                      // 000000007948: 7E0C0342
	s_mov_b64 s[60:61], 0                                      // 00000000794C: BEBC0180
	v_readlane_b32 s82, v3, 0                                  // 000000007950: D2890052 00010103
	s_and_b32 s82, s82, 0xffffff                               // 000000007958: 8652FF52 00FFFFFF
	s_cmp_lt_u32 s82, s66                                      // 000000007960: BF0A4252
	s_cselect_b32 s20, s36, s60                                // 000000007964: 85143C24
	v_readlane_b32 s82, v3, 1                                  // 000000007968: D2890052 00010303
	s_and_b32 s82, s82, 0xffffff                               // 000000007970: 8652FF52 00FFFFFF
	s_cmp_lt_u32 s82, s66                                      // 000000007978: BF0A4252
	s_cselect_b32 s21, s36, s60                                // 00000000797C: 85153C24
	s_mov_b64 exec, s[20:21]                                   // 000000007980: BEFE0114
	global_atomic_add_f32 v6, v88, s[8:9]                      // 000000007984: DD348000 00085806
	s_mov_b64 exec, s[36:37]                                   // 00000000798C: BEFE0124
	v_mov_b32_e32 v6, v67                                      // 000000007990: 7E0C0343
	s_mov_b64 s[60:61], 0                                      // 000000007994: BEBC0180
	v_readlane_b32 s82, v3, 2                                  // 000000007998: D2890052 00010503
	s_and_b32 s82, s82, 0xffffff                               // 0000000079A0: 8652FF52 00FFFFFF
	s_cmp_lt_u32 s82, s66                                      // 0000000079A8: BF0A4252
	s_cselect_b32 s20, s36, s60                                // 0000000079AC: 85143C24
	v_readlane_b32 s82, v3, 3                                  // 0000000079B0: D2890052 00010703
	s_and_b32 s82, s82, 0xffffff                               // 0000000079B8: 8652FF52 00FFFFFF
	s_cmp_lt_u32 s82, s66                                      // 0000000079C0: BF0A4252
	s_cselect_b32 s21, s36, s60                                // 0000000079C4: 85153C24
	s_mov_b64 exec, s[20:21]                                   // 0000000079C8: BEFE0114
	global_atomic_add_f32 v6, v89, s[8:9]                      // 0000000079CC: DD348000 00085906
	s_mov_b64 exec, s[36:37]                                   // 0000000079D4: BEFE0124
	v_mov_b32_e32 v6, v68                                      // 0000000079D8: 7E0C0344
	s_mov_b64 s[60:61], 0                                      // 0000000079DC: BEBC0180
	v_readlane_b32 s82, v3, 4                                  // 0000000079E0: D2890052 00010903
	s_and_b32 s82, s82, 0xffffff                               // 0000000079E8: 8652FF52 00FFFFFF
	s_cmp_lt_u32 s82, s66                                      // 0000000079F0: BF0A4252
	s_cselect_b32 s20, s36, s60                                // 0000000079F4: 85143C24
	v_readlane_b32 s82, v3, 5                                  // 0000000079F8: D2890052 00010B03
	s_and_b32 s82, s82, 0xffffff                               // 000000007A00: 8652FF52 00FFFFFF
	s_cmp_lt_u32 s82, s66                                      // 000000007A08: BF0A4252
	s_cselect_b32 s21, s36, s60                                // 000000007A0C: 85153C24
	s_mov_b64 exec, s[20:21]                                   // 000000007A10: BEFE0114
	global_atomic_add_f32 v6, v92, s[8:9]                      // 000000007A14: DD348000 00085C06
	s_mov_b64 exec, s[36:37]                                   // 000000007A1C: BEFE0124
	v_mov_b32_e32 v6, v69                                      // 000000007A20: 7E0C0345
	s_mov_b64 s[60:61], 0                                      // 000000007A24: BEBC0180
	v_readlane_b32 s82, v3, 6                                  // 000000007A28: D2890052 00010D03
	s_and_b32 s82, s82, 0xffffff                               // 000000007A30: 8652FF52 00FFFFFF
	s_cmp_lt_u32 s82, s66                                      // 000000007A38: BF0A4252
	s_cselect_b32 s20, s36, s60                                // 000000007A3C: 85143C24
	v_readlane_b32 s82, v3, 7                                  // 000000007A40: D2890052 00010F03
	s_and_b32 s82, s82, 0xffffff                               // 000000007A48: 8652FF52 00FFFFFF
	s_cmp_lt_u32 s82, s66                                      // 000000007A50: BF0A4252
	s_cselect_b32 s21, s36, s60                                // 000000007A54: 85153C24
	s_mov_b64 exec, s[20:21]                                   // 000000007A58: BEFE0114
	global_atomic_add_f32 v6, v93, s[8:9]                      // 000000007A5C: DD348000 00085D06
	s_mov_b64 exec, s[36:37]                                   // 000000007A64: BEFE0124
	v_mov_b32_e32 v6, v70                                      // 000000007A68: 7E0C0346
	s_mov_b64 s[60:61], 0                                      // 000000007A6C: BEBC0180
	v_readlane_b32 s82, v3, 8                                  // 000000007A70: D2890052 00011103
	s_and_b32 s82, s82, 0xffffff                               // 000000007A78: 8652FF52 00FFFFFF
	s_cmp_lt_u32 s82, s66                                      // 000000007A80: BF0A4252
	s_cselect_b32 s20, s36, s60                                // 000000007A84: 85143C24
	v_readlane_b32 s82, v3, 9                                  // 000000007A88: D2890052 00011303
	s_and_b32 s82, s82, 0xffffff                               // 000000007A90: 8652FF52 00FFFFFF
	s_cmp_lt_u32 s82, s66                                      // 000000007A98: BF0A4252
	s_cselect_b32 s21, s36, s60                                // 000000007A9C: 85153C24
	s_mov_b64 exec, s[20:21]                                   // 000000007AA0: BEFE0114
	global_atomic_add_f32 v6, v96, s[8:9]                      // 000000007AA4: DD348000 00086006
	s_mov_b64 exec, s[36:37]                                   // 000000007AAC: BEFE0124
	v_mov_b32_e32 v6, v71                                      // 000000007AB0: 7E0C0347
	s_mov_b64 s[60:61], 0                                      // 000000007AB4: BEBC0180
	v_readlane_b32 s82, v3, 10                                 // 000000007AB8: D2890052 00011503
	s_and_b32 s82, s82, 0xffffff                               // 000000007AC0: 8652FF52 00FFFFFF
	s_cmp_lt_u32 s82, s66                                      // 000000007AC8: BF0A4252
	s_cselect_b32 s20, s36, s60                                // 000000007ACC: 85143C24
	v_readlane_b32 s82, v3, 11                                 // 000000007AD0: D2890052 00011703
	s_and_b32 s82, s82, 0xffffff                               // 000000007AD8: 8652FF52 00FFFFFF
	s_cmp_lt_u32 s82, s66                                      // 000000007AE0: BF0A4252
	s_cselect_b32 s21, s36, s60                                // 000000007AE4: 85153C24
	s_mov_b64 exec, s[20:21]                                   // 000000007AE8: BEFE0114
	global_atomic_add_f32 v6, v97, s[8:9]                      // 000000007AEC: DD348000 00086106
	s_mov_b64 exec, s[36:37]                                   // 000000007AF4: BEFE0124
	v_mov_b32_e32 v6, v72                                      // 000000007AF8: 7E0C0348
	s_mov_b64 s[60:61], 0                                      // 000000007AFC: BEBC0180
	v_readlane_b32 s82, v3, 12                                 // 000000007B00: D2890052 00011903
	s_and_b32 s82, s82, 0xffffff                               // 000000007B08: 8652FF52 00FFFFFF
	s_cmp_lt_u32 s82, s66                                      // 000000007B10: BF0A4252
	s_cselect_b32 s20, s36, s60                                // 000000007B14: 85143C24
	v_readlane_b32 s82, v3, 13                                 // 000000007B18: D2890052 00011B03
	s_and_b32 s82, s82, 0xffffff                               // 000000007B20: 8652FF52 00FFFFFF
	s_cmp_lt_u32 s82, s66                                      // 000000007B28: BF0A4252
	s_cselect_b32 s21, s36, s60                                // 000000007B2C: 85153C24
	s_mov_b64 exec, s[20:21]                                   // 000000007B30: BEFE0114
	global_atomic_add_f32 v6, v100, s[8:9]                     // 000000007B34: DD348000 00086406
	s_mov_b64 exec, s[36:37]                                   // 000000007B3C: BEFE0124
	v_mov_b32_e32 v6, v73                                      // 000000007B40: 7E0C0349
	s_mov_b64 s[60:61], 0                                      // 000000007B44: BEBC0180
	v_readlane_b32 s82, v3, 14                                 // 000000007B48: D2890052 00011D03
	s_and_b32 s82, s82, 0xffffff                               // 000000007B50: 8652FF52 00FFFFFF
	s_cmp_lt_u32 s82, s66                                      // 000000007B58: BF0A4252
	s_cselect_b32 s20, s36, s60                                // 000000007B5C: 85143C24
	v_readlane_b32 s82, v3, 15                                 // 000000007B60: D2890052 00011F03
	s_and_b32 s82, s82, 0xffffff                               // 000000007B68: 8652FF52 00FFFFFF
	s_cmp_lt_u32 s82, s66                                      // 000000007B70: BF0A4252
	s_cselect_b32 s21, s36, s60                                // 000000007B74: 85153C24
	s_mov_b64 exec, s[20:21]                                   // 000000007B78: BEFE0114
	global_atomic_add_f32 v6, v101, s[8:9]                     // 000000007B7C: DD348000 00086506
	s_mov_b64 exec, s[36:37]                                   // 000000007B84: BEFE0124
	v_mov_b32_e32 v6, v74                                      // 000000007B88: 7E0C034A
	s_mov_b64 s[60:61], 0                                      // 000000007B8C: BEBC0180
	v_readlane_b32 s82, v3, 16                                 // 000000007B90: D2890052 00012103
	s_and_b32 s82, s82, 0xffffff                               // 000000007B98: 8652FF52 00FFFFFF
	s_cmp_lt_u32 s82, s66                                      // 000000007BA0: BF0A4252
	s_cselect_b32 s20, s36, s60                                // 000000007BA4: 85143C24
	v_readlane_b32 s82, v3, 17                                 // 000000007BA8: D2890052 00012303
	s_and_b32 s82, s82, 0xffffff                               // 000000007BB0: 8652FF52 00FFFFFF
	s_cmp_lt_u32 s82, s66                                      // 000000007BB8: BF0A4252
	s_cselect_b32 s21, s36, s60                                // 000000007BBC: 85153C24
	s_mov_b64 exec, s[20:21]                                   // 000000007BC0: BEFE0114
	global_atomic_add_f32 v6, v104, s[8:9]                     // 000000007BC4: DD348000 00086806
	s_mov_b64 exec, s[36:37]                                   // 000000007BCC: BEFE0124
	v_mov_b32_e32 v6, v75                                      // 000000007BD0: 7E0C034B
	s_mov_b64 s[60:61], 0                                      // 000000007BD4: BEBC0180
	v_readlane_b32 s82, v3, 18                                 // 000000007BD8: D2890052 00012503
	s_and_b32 s82, s82, 0xffffff                               // 000000007BE0: 8652FF52 00FFFFFF
	s_cmp_lt_u32 s82, s66                                      // 000000007BE8: BF0A4252
	s_cselect_b32 s20, s36, s60                                // 000000007BEC: 85143C24
	v_readlane_b32 s82, v3, 19                                 // 000000007BF0: D2890052 00012703
	s_and_b32 s82, s82, 0xffffff                               // 000000007BF8: 8652FF52 00FFFFFF
	s_cmp_lt_u32 s82, s66                                      // 000000007C00: BF0A4252
	s_cselect_b32 s21, s36, s60                                // 000000007C04: 85153C24
	s_mov_b64 exec, s[20:21]                                   // 000000007C08: BEFE0114
	global_atomic_add_f32 v6, v105, s[8:9]                     // 000000007C0C: DD348000 00086906
	s_mov_b64 exec, s[36:37]                                   // 000000007C14: BEFE0124
	v_mov_b32_e32 v6, v76                                      // 000000007C18: 7E0C034C
	s_mov_b64 s[60:61], 0                                      // 000000007C1C: BEBC0180
	v_readlane_b32 s82, v3, 20                                 // 000000007C20: D2890052 00012903
	s_and_b32 s82, s82, 0xffffff                               // 000000007C28: 8652FF52 00FFFFFF
	s_cmp_lt_u32 s82, s66                                      // 000000007C30: BF0A4252
	s_cselect_b32 s20, s36, s60                                // 000000007C34: 85143C24
	v_readlane_b32 s82, v3, 21                                 // 000000007C38: D2890052 00012B03
	s_and_b32 s82, s82, 0xffffff                               // 000000007C40: 8652FF52 00FFFFFF
	s_cmp_lt_u32 s82, s66                                      // 000000007C48: BF0A4252
	s_cselect_b32 s21, s36, s60                                // 000000007C4C: 85153C24
	s_mov_b64 exec, s[20:21]                                   // 000000007C50: BEFE0114
	global_atomic_add_f32 v6, v108, s[8:9]                     // 000000007C54: DD348000 00086C06
	s_mov_b64 exec, s[36:37]                                   // 000000007C5C: BEFE0124
	v_mov_b32_e32 v6, v77                                      // 000000007C60: 7E0C034D
	s_mov_b64 s[60:61], 0                                      // 000000007C64: BEBC0180
	v_readlane_b32 s82, v3, 22                                 // 000000007C68: D2890052 00012D03
	s_and_b32 s82, s82, 0xffffff                               // 000000007C70: 8652FF52 00FFFFFF
	s_cmp_lt_u32 s82, s66                                      // 000000007C78: BF0A4252
	s_cselect_b32 s20, s36, s60                                // 000000007C7C: 85143C24
	v_readlane_b32 s82, v3, 23                                 // 000000007C80: D2890052 00012F03
	s_and_b32 s82, s82, 0xffffff                               // 000000007C88: 8652FF52 00FFFFFF
	s_cmp_lt_u32 s82, s66                                      // 000000007C90: BF0A4252
	s_cselect_b32 s21, s36, s60                                // 000000007C94: 85153C24
	s_mov_b64 exec, s[20:21]                                   // 000000007C98: BEFE0114
	global_atomic_add_f32 v6, v109, s[8:9]                     // 000000007C9C: DD348000 00086D06
	s_mov_b64 exec, s[36:37]                                   // 000000007CA4: BEFE0124
	v_mov_b32_e32 v6, v78                                      // 000000007CA8: 7E0C034E
	s_mov_b64 s[60:61], 0                                      // 000000007CAC: BEBC0180
	v_readlane_b32 s82, v3, 24                                 // 000000007CB0: D2890052 00013103
	s_and_b32 s82, s82, 0xffffff                               // 000000007CB8: 8652FF52 00FFFFFF
	s_cmp_lt_u32 s82, s66                                      // 000000007CC0: BF0A4252
	s_cselect_b32 s20, s36, s60                                // 000000007CC4: 85143C24
	v_readlane_b32 s82, v3, 25                                 // 000000007CC8: D2890052 00013303
	s_and_b32 s82, s82, 0xffffff                               // 000000007CD0: 8652FF52 00FFFFFF
	s_cmp_lt_u32 s82, s66                                      // 000000007CD8: BF0A4252
	s_cselect_b32 s21, s36, s60                                // 000000007CDC: 85153C24
	s_mov_b64 exec, s[20:21]                                   // 000000007CE0: BEFE0114
	global_atomic_add_f32 v6, v112, s[8:9]                     // 000000007CE4: DD348000 00087006
	s_mov_b64 exec, s[36:37]                                   // 000000007CEC: BEFE0124
	v_mov_b32_e32 v6, v79                                      // 000000007CF0: 7E0C034F
	s_mov_b64 s[60:61], 0                                      // 000000007CF4: BEBC0180
	v_readlane_b32 s82, v3, 26                                 // 000000007CF8: D2890052 00013503
	s_and_b32 s82, s82, 0xffffff                               // 000000007D00: 8652FF52 00FFFFFF
	s_cmp_lt_u32 s82, s66                                      // 000000007D08: BF0A4252
	s_cselect_b32 s20, s36, s60                                // 000000007D0C: 85143C24
	v_readlane_b32 s82, v3, 27                                 // 000000007D10: D2890052 00013703
	s_and_b32 s82, s82, 0xffffff                               // 000000007D18: 8652FF52 00FFFFFF
	s_cmp_lt_u32 s82, s66                                      // 000000007D20: BF0A4252
	s_cselect_b32 s21, s36, s60                                // 000000007D24: 85153C24
	s_mov_b64 exec, s[20:21]                                   // 000000007D28: BEFE0114
	global_atomic_add_f32 v6, v113, s[8:9]                     // 000000007D2C: DD348000 00087106
	s_mov_b64 exec, s[36:37]                                   // 000000007D34: BEFE0124
	v_mov_b32_e32 v6, v80                                      // 000000007D38: 7E0C0350
	s_mov_b64 s[60:61], 0                                      // 000000007D3C: BEBC0180
	v_readlane_b32 s82, v3, 28                                 // 000000007D40: D2890052 00013903
	s_and_b32 s82, s82, 0xffffff                               // 000000007D48: 8652FF52 00FFFFFF
	s_cmp_lt_u32 s82, s66                                      // 000000007D50: BF0A4252
	s_cselect_b32 s20, s36, s60                                // 000000007D54: 85143C24
	v_readlane_b32 s82, v3, 29                                 // 000000007D58: D2890052 00013B03
	s_and_b32 s82, s82, 0xffffff                               // 000000007D60: 8652FF52 00FFFFFF
	s_cmp_lt_u32 s82, s66                                      // 000000007D68: BF0A4252
	s_cselect_b32 s21, s36, s60                                // 000000007D6C: 85153C24
	s_mov_b64 exec, s[20:21]                                   // 000000007D70: BEFE0114
	global_atomic_add_f32 v6, v116, s[8:9]                     // 000000007D74: DD348000 00087406
	s_mov_b64 exec, s[36:37]                                   // 000000007D7C: BEFE0124
	v_mov_b32_e32 v6, v81                                      // 000000007D80: 7E0C0351
	s_mov_b64 s[60:61], 0                                      // 000000007D84: BEBC0180
	v_readlane_b32 s82, v3, 30                                 // 000000007D88: D2890052 00013D03
	s_and_b32 s82, s82, 0xffffff                               // 000000007D90: 8652FF52 00FFFFFF
	s_cmp_lt_u32 s82, s66                                      // 000000007D98: BF0A4252
	s_cselect_b32 s20, s36, s60                                // 000000007D9C: 85143C24
	v_readlane_b32 s82, v3, 31                                 // 000000007DA0: D2890052 00013F03
	s_and_b32 s82, s82, 0xffffff                               // 000000007DA8: 8652FF52 00FFFFFF
	s_cmp_lt_u32 s82, s66                                      // 000000007DB0: BF0A4252
	s_cselect_b32 s21, s36, s60                                // 000000007DB4: 85153C24
	s_mov_b64 exec, s[20:21]                                   // 000000007DB8: BEFE0114
	global_atomic_add_f32 v6, v117, s[8:9]                     // 000000007DBC: DD348000 00087506
	s_mov_b64 exec, s[36:37]                                   // 000000007DC4: BEFE0124
	v_mov_b32_e32 v6, v82                                      // 000000007DC8: 7E0C0352
	s_mov_b64 s[60:61], 0                                      // 000000007DCC: BEBC0180
	v_readlane_b32 s82, v3, 32                                 // 000000007DD0: D2890052 00014103
	s_and_b32 s82, s82, 0xffffff                               // 000000007DD8: 8652FF52 00FFFFFF
	s_cmp_lt_u32 s82, s66                                      // 000000007DE0: BF0A4252
	s_cselect_b32 s20, s36, s60                                // 000000007DE4: 85143C24
	v_readlane_b32 s82, v3, 33                                 // 000000007DE8: D2890052 00014303
	s_and_b32 s82, s82, 0xffffff                               // 000000007DF0: 8652FF52 00FFFFFF
	s_cmp_lt_u32 s82, s66                                      // 000000007DF8: BF0A4252
	s_cselect_b32 s21, s36, s60                                // 000000007DFC: 85153C24
	s_mov_b64 exec, s[20:21]                                   // 000000007E00: BEFE0114
	global_atomic_add_f32 v6, v120, s[8:9]                     // 000000007E04: DD348000 00087806
	s_mov_b64 exec, s[36:37]                                   // 000000007E0C: BEFE0124
	v_mov_b32_e32 v6, v83                                      // 000000007E10: 7E0C0353
	s_mov_b64 s[60:61], 0                                      // 000000007E14: BEBC0180
	v_readlane_b32 s82, v3, 34                                 // 000000007E18: D2890052 00014503
	s_and_b32 s82, s82, 0xffffff                               // 000000007E20: 8652FF52 00FFFFFF
	s_cmp_lt_u32 s82, s66                                      // 000000007E28: BF0A4252
	s_cselect_b32 s20, s36, s60                                // 000000007E2C: 85143C24
	v_readlane_b32 s82, v3, 35                                 // 000000007E30: D2890052 00014703
	s_and_b32 s82, s82, 0xffffff                               // 000000007E38: 8652FF52 00FFFFFF
	s_cmp_lt_u32 s82, s66                                      // 000000007E40: BF0A4252
	s_cselect_b32 s21, s36, s60                                // 000000007E44: 85153C24
	s_mov_b64 exec, s[20:21]                                   // 000000007E48: BEFE0114
	global_atomic_add_f32 v6, v121, s[8:9]                     // 000000007E4C: DD348000 00087906
	s_mov_b64 exec, s[36:37]                                   // 000000007E54: BEFE0124
	ds_write_b64 v20, v[90:91]                                 // 000000007E58: D89A0000 00005A14
	ds_write_b64 v20, v[94:95] offset:2176                     // 000000007E60: D89A0880 00005E14
	ds_write_b64 v20, v[98:99] offset:4352                     // 000000007E68: D89A1100 00006214
	ds_write_b64 v20, v[102:103] offset:6528                   // 000000007E70: D89A1980 00006614
	ds_write_b64 v20, v[106:107] offset:8704                   // 000000007E78: D89A2200 00006A14
	ds_write_b64 v20, v[110:111] offset:10880                  // 000000007E80: D89A2A80 00006E14
	ds_write_b64 v20, v[114:115] offset:13056                  // 000000007E88: D89A3300 00007214
	ds_write_b64 v20, v[118:119] offset:15232                  // 000000007E90: D89A3B80 00007614
	ds_write_b64 v20, v[122:123] offset:17408                  // 000000007E98: D89A4400 00007A14
	s_waitcnt lgkmcnt(0)                                       // 000000007EA0: BF8CC07F
	s_barrier                                                  // 000000007EA4: BF8A0000
	ds_read_b32 v90, v21                                       // 000000007EA8: D86C0000 5A000015
	ds_read_b32 v91, v21 offset:64                             // 000000007EB0: D86C0040 5B000015
	ds_read_b32 v94, v21 offset:2176                           // 000000007EB8: D86C0880 5E000015
	ds_read_b32 v95, v21 offset:2240                           // 000000007EC0: D86C08C0 5F000015
	ds_read_b32 v98, v21 offset:4352                           // 000000007EC8: D86C1100 62000015
	ds_read_b32 v99, v21 offset:4416                           // 000000007ED0: D86C1140 63000015
	ds_read_b32 v102, v21 offset:6528                          // 000000007ED8: D86C1980 66000015
	ds_read_b32 v103, v21 offset:6592                          // 000000007EE0: D86C19C0 67000015
	ds_read_b32 v106, v21 offset:8704                          // 000000007EE8: D86C2200 6A000015
	ds_read_b32 v107, v21 offset:8768                          // 000000007EF0: D86C2240 6B000015
	ds_read_b32 v110, v21 offset:10880                         // 000000007EF8: D86C2A80 6E000015
	ds_read_b32 v111, v21 offset:10944                         // 000000007F00: D86C2AC0 6F000015
	ds_read_b32 v114, v21 offset:13056                         // 000000007F08: D86C3300 72000015
	ds_read_b32 v115, v21 offset:13120                         // 000000007F10: D86C3340 73000015
	ds_read_b32 v118, v21 offset:15232                         // 000000007F18: D86C3B80 76000015
	ds_read_b32 v119, v21 offset:15296                         // 000000007F20: D86C3BC0 77000015
	ds_read_b32 v122, v21 offset:17408                         // 000000007F28: D86C4400 7A000015
	ds_read_b32 v123, v21 offset:17472                         // 000000007F30: D86C4440 7B000015
	s_waitcnt lgkmcnt(0)                                       // 000000007F38: BF8CC07F
	v_mov_b32_e32 v7, 0                                        // 000000007F3C: 7E0E0280
	s_mov_b64 exec, s[36:37]                                   // 000000007F40: BEFE0124
	v_mov_b32_e32 v6, v66                                      // 000000007F44: 7E0C0342
	s_mov_b64 s[60:61], 0                                      // 000000007F48: BEBC0180
	v_readlane_b32 s82, v3, 0                                  // 000000007F4C: D2890052 00010103
	s_and_b32 s82, s82, 0xffffff                               // 000000007F54: 8652FF52 00FFFFFF
	s_cmp_lt_u32 s82, s66                                      // 000000007F5C: BF0A4252
	s_cselect_b32 s20, s36, s60                                // 000000007F60: 85143C24
	v_readlane_b32 s82, v3, 1                                  // 000000007F64: D2890052 00010303
	s_and_b32 s82, s82, 0xffffff                               // 000000007F6C: 8652FF52 00FFFFFF
	s_cmp_lt_u32 s82, s66                                      // 000000007F74: BF0A4252
	s_cselect_b32 s21, s36, s60                                // 000000007F78: 85153C24
	s_mov_b64 exec, s[20:21]                                   // 000000007F7C: BEFE0114
	global_atomic_add_f32 v6, v90, s[8:9] offset:8             // 000000007F80: DD348008 00085A06
	s_mov_b64 exec, s[36:37]                                   // 000000007F88: BEFE0124
	v_mov_b32_e32 v6, v67                                      // 000000007F8C: 7E0C0343
	s_mov_b64 s[60:61], 0                                      // 000000007F90: BEBC0180
	v_readlane_b32 s82, v3, 2                                  // 000000007F94: D2890052 00010503
	s_and_b32 s82, s82, 0xffffff                               // 000000007F9C: 8652FF52 00FFFFFF
	s_cmp_lt_u32 s82, s66                                      // 000000007FA4: BF0A4252
	s_cselect_b32 s20, s36, s60                                // 000000007FA8: 85143C24
	v_readlane_b32 s82, v3, 3                                  // 000000007FAC: D2890052 00010703
	s_and_b32 s82, s82, 0xffffff                               // 000000007FB4: 8652FF52 00FFFFFF
	s_cmp_lt_u32 s82, s66                                      // 000000007FBC: BF0A4252
	s_cselect_b32 s21, s36, s60                                // 000000007FC0: 85153C24
	s_mov_b64 exec, s[20:21]                                   // 000000007FC4: BEFE0114
	global_atomic_add_f32 v6, v91, s[8:9] offset:8             // 000000007FC8: DD348008 00085B06
	s_mov_b64 exec, s[36:37]                                   // 000000007FD0: BEFE0124
	v_mov_b32_e32 v6, v68                                      // 000000007FD4: 7E0C0344
	s_mov_b64 s[60:61], 0                                      // 000000007FD8: BEBC0180
	v_readlane_b32 s82, v3, 4                                  // 000000007FDC: D2890052 00010903
	s_and_b32 s82, s82, 0xffffff                               // 000000007FE4: 8652FF52 00FFFFFF
	s_cmp_lt_u32 s82, s66                                      // 000000007FEC: BF0A4252
	s_cselect_b32 s20, s36, s60                                // 000000007FF0: 85143C24
	v_readlane_b32 s82, v3, 5                                  // 000000007FF4: D2890052 00010B03
	s_and_b32 s82, s82, 0xffffff                               // 000000007FFC: 8652FF52 00FFFFFF
	s_cmp_lt_u32 s82, s66                                      // 000000008004: BF0A4252
	s_cselect_b32 s21, s36, s60                                // 000000008008: 85153C24
	s_mov_b64 exec, s[20:21]                                   // 00000000800C: BEFE0114
	global_atomic_add_f32 v6, v94, s[8:9] offset:8             // 000000008010: DD348008 00085E06
	s_mov_b64 exec, s[36:37]                                   // 000000008018: BEFE0124
	v_mov_b32_e32 v6, v69                                      // 00000000801C: 7E0C0345
	s_mov_b64 s[60:61], 0                                      // 000000008020: BEBC0180
	v_readlane_b32 s82, v3, 6                                  // 000000008024: D2890052 00010D03
	s_and_b32 s82, s82, 0xffffff                               // 00000000802C: 8652FF52 00FFFFFF
	s_cmp_lt_u32 s82, s66                                      // 000000008034: BF0A4252
	s_cselect_b32 s20, s36, s60                                // 000000008038: 85143C24
	v_readlane_b32 s82, v3, 7                                  // 00000000803C: D2890052 00010F03
	s_and_b32 s82, s82, 0xffffff                               // 000000008044: 8652FF52 00FFFFFF
	s_cmp_lt_u32 s82, s66                                      // 00000000804C: BF0A4252
	s_cselect_b32 s21, s36, s60                                // 000000008050: 85153C24
	s_mov_b64 exec, s[20:21]                                   // 000000008054: BEFE0114
	global_atomic_add_f32 v6, v95, s[8:9] offset:8             // 000000008058: DD348008 00085F06
	s_mov_b64 exec, s[36:37]                                   // 000000008060: BEFE0124
	v_mov_b32_e32 v6, v70                                      // 000000008064: 7E0C0346
	s_mov_b64 s[60:61], 0                                      // 000000008068: BEBC0180
	v_readlane_b32 s82, v3, 8                                  // 00000000806C: D2890052 00011103
	s_and_b32 s82, s82, 0xffffff                               // 000000008074: 8652FF52 00FFFFFF
	s_cmp_lt_u32 s82, s66                                      // 00000000807C: BF0A4252
	s_cselect_b32 s20, s36, s60                                // 000000008080: 85143C24
	v_readlane_b32 s82, v3, 9                                  // 000000008084: D2890052 00011303
	s_and_b32 s82, s82, 0xffffff                               // 00000000808C: 8652FF52 00FFFFFF
	s_cmp_lt_u32 s82, s66                                      // 000000008094: BF0A4252
	s_cselect_b32 s21, s36, s60                                // 000000008098: 85153C24
	s_mov_b64 exec, s[20:21]                                   // 00000000809C: BEFE0114
	global_atomic_add_f32 v6, v98, s[8:9] offset:8             // 0000000080A0: DD348008 00086206
	s_mov_b64 exec, s[36:37]                                   // 0000000080A8: BEFE0124
	v_mov_b32_e32 v6, v71                                      // 0000000080AC: 7E0C0347
	s_mov_b64 s[60:61], 0                                      // 0000000080B0: BEBC0180
	v_readlane_b32 s82, v3, 10                                 // 0000000080B4: D2890052 00011503
	s_and_b32 s82, s82, 0xffffff                               // 0000000080BC: 8652FF52 00FFFFFF
	s_cmp_lt_u32 s82, s66                                      // 0000000080C4: BF0A4252
	s_cselect_b32 s20, s36, s60                                // 0000000080C8: 85143C24
	v_readlane_b32 s82, v3, 11                                 // 0000000080CC: D2890052 00011703
	s_and_b32 s82, s82, 0xffffff                               // 0000000080D4: 8652FF52 00FFFFFF
	s_cmp_lt_u32 s82, s66                                      // 0000000080DC: BF0A4252
	s_cselect_b32 s21, s36, s60                                // 0000000080E0: 85153C24
	s_mov_b64 exec, s[20:21]                                   // 0000000080E4: BEFE0114
	global_atomic_add_f32 v6, v99, s[8:9] offset:8             // 0000000080E8: DD348008 00086306
	s_mov_b64 exec, s[36:37]                                   // 0000000080F0: BEFE0124
	v_mov_b32_e32 v6, v72                                      // 0000000080F4: 7E0C0348
	s_mov_b64 s[60:61], 0                                      // 0000000080F8: BEBC0180
	v_readlane_b32 s82, v3, 12                                 // 0000000080FC: D2890052 00011903
	s_and_b32 s82, s82, 0xffffff                               // 000000008104: 8652FF52 00FFFFFF
	s_cmp_lt_u32 s82, s66                                      // 00000000810C: BF0A4252
	s_cselect_b32 s20, s36, s60                                // 000000008110: 85143C24
	v_readlane_b32 s82, v3, 13                                 // 000000008114: D2890052 00011B03
	s_and_b32 s82, s82, 0xffffff                               // 00000000811C: 8652FF52 00FFFFFF
	s_cmp_lt_u32 s82, s66                                      // 000000008124: BF0A4252
	s_cselect_b32 s21, s36, s60                                // 000000008128: 85153C24
	s_mov_b64 exec, s[20:21]                                   // 00000000812C: BEFE0114
	global_atomic_add_f32 v6, v102, s[8:9] offset:8            // 000000008130: DD348008 00086606
	s_mov_b64 exec, s[36:37]                                   // 000000008138: BEFE0124
	v_mov_b32_e32 v6, v73                                      // 00000000813C: 7E0C0349
	s_mov_b64 s[60:61], 0                                      // 000000008140: BEBC0180
	v_readlane_b32 s82, v3, 14                                 // 000000008144: D2890052 00011D03
	s_and_b32 s82, s82, 0xffffff                               // 00000000814C: 8652FF52 00FFFFFF
	s_cmp_lt_u32 s82, s66                                      // 000000008154: BF0A4252
	s_cselect_b32 s20, s36, s60                                // 000000008158: 85143C24
	v_readlane_b32 s82, v3, 15                                 // 00000000815C: D2890052 00011F03
	s_and_b32 s82, s82, 0xffffff                               // 000000008164: 8652FF52 00FFFFFF
	s_cmp_lt_u32 s82, s66                                      // 00000000816C: BF0A4252
	s_cselect_b32 s21, s36, s60                                // 000000008170: 85153C24
	s_mov_b64 exec, s[20:21]                                   // 000000008174: BEFE0114
	global_atomic_add_f32 v6, v103, s[8:9] offset:8            // 000000008178: DD348008 00086706
	s_mov_b64 exec, s[36:37]                                   // 000000008180: BEFE0124
	v_mov_b32_e32 v6, v74                                      // 000000008184: 7E0C034A
	s_mov_b64 s[60:61], 0                                      // 000000008188: BEBC0180
	v_readlane_b32 s82, v3, 16                                 // 00000000818C: D2890052 00012103
	s_and_b32 s82, s82, 0xffffff                               // 000000008194: 8652FF52 00FFFFFF
	s_cmp_lt_u32 s82, s66                                      // 00000000819C: BF0A4252
	s_cselect_b32 s20, s36, s60                                // 0000000081A0: 85143C24
	v_readlane_b32 s82, v3, 17                                 // 0000000081A4: D2890052 00012303
	s_and_b32 s82, s82, 0xffffff                               // 0000000081AC: 8652FF52 00FFFFFF
	s_cmp_lt_u32 s82, s66                                      // 0000000081B4: BF0A4252
	s_cselect_b32 s21, s36, s60                                // 0000000081B8: 85153C24
	s_mov_b64 exec, s[20:21]                                   // 0000000081BC: BEFE0114
	global_atomic_add_f32 v6, v106, s[8:9] offset:8            // 0000000081C0: DD348008 00086A06
	s_mov_b64 exec, s[36:37]                                   // 0000000081C8: BEFE0124
	v_mov_b32_e32 v6, v75                                      // 0000000081CC: 7E0C034B
	s_mov_b64 s[60:61], 0                                      // 0000000081D0: BEBC0180
	v_readlane_b32 s82, v3, 18                                 // 0000000081D4: D2890052 00012503
	s_and_b32 s82, s82, 0xffffff                               // 0000000081DC: 8652FF52 00FFFFFF
	s_cmp_lt_u32 s82, s66                                      // 0000000081E4: BF0A4252
	s_cselect_b32 s20, s36, s60                                // 0000000081E8: 85143C24
	v_readlane_b32 s82, v3, 19                                 // 0000000081EC: D2890052 00012703
	s_and_b32 s82, s82, 0xffffff                               // 0000000081F4: 8652FF52 00FFFFFF
	s_cmp_lt_u32 s82, s66                                      // 0000000081FC: BF0A4252
	s_cselect_b32 s21, s36, s60                                // 000000008200: 85153C24
	s_mov_b64 exec, s[20:21]                                   // 000000008204: BEFE0114
	global_atomic_add_f32 v6, v107, s[8:9] offset:8            // 000000008208: DD348008 00086B06
	s_mov_b64 exec, s[36:37]                                   // 000000008210: BEFE0124
	v_mov_b32_e32 v6, v76                                      // 000000008214: 7E0C034C
	s_mov_b64 s[60:61], 0                                      // 000000008218: BEBC0180
	v_readlane_b32 s82, v3, 20                                 // 00000000821C: D2890052 00012903
	s_and_b32 s82, s82, 0xffffff                               // 000000008224: 8652FF52 00FFFFFF
	s_cmp_lt_u32 s82, s66                                      // 00000000822C: BF0A4252
	s_cselect_b32 s20, s36, s60                                // 000000008230: 85143C24
	v_readlane_b32 s82, v3, 21                                 // 000000008234: D2890052 00012B03
	s_and_b32 s82, s82, 0xffffff                               // 00000000823C: 8652FF52 00FFFFFF
	s_cmp_lt_u32 s82, s66                                      // 000000008244: BF0A4252
	s_cselect_b32 s21, s36, s60                                // 000000008248: 85153C24
	s_mov_b64 exec, s[20:21]                                   // 00000000824C: BEFE0114
	global_atomic_add_f32 v6, v110, s[8:9] offset:8            // 000000008250: DD348008 00086E06
	s_mov_b64 exec, s[36:37]                                   // 000000008258: BEFE0124
	v_mov_b32_e32 v6, v77                                      // 00000000825C: 7E0C034D
	s_mov_b64 s[60:61], 0                                      // 000000008260: BEBC0180
	v_readlane_b32 s82, v3, 22                                 // 000000008264: D2890052 00012D03
	s_and_b32 s82, s82, 0xffffff                               // 00000000826C: 8652FF52 00FFFFFF
	s_cmp_lt_u32 s82, s66                                      // 000000008274: BF0A4252
	s_cselect_b32 s20, s36, s60                                // 000000008278: 85143C24
	v_readlane_b32 s82, v3, 23                                 // 00000000827C: D2890052 00012F03
	s_and_b32 s82, s82, 0xffffff                               // 000000008284: 8652FF52 00FFFFFF
	s_cmp_lt_u32 s82, s66                                      // 00000000828C: BF0A4252
	s_cselect_b32 s21, s36, s60                                // 000000008290: 85153C24
	s_mov_b64 exec, s[20:21]                                   // 000000008294: BEFE0114
	global_atomic_add_f32 v6, v111, s[8:9] offset:8            // 000000008298: DD348008 00086F06
	s_mov_b64 exec, s[36:37]                                   // 0000000082A0: BEFE0124
	v_mov_b32_e32 v6, v78                                      // 0000000082A4: 7E0C034E
	s_mov_b64 s[60:61], 0                                      // 0000000082A8: BEBC0180
	v_readlane_b32 s82, v3, 24                                 // 0000000082AC: D2890052 00013103
	s_and_b32 s82, s82, 0xffffff                               // 0000000082B4: 8652FF52 00FFFFFF
	s_cmp_lt_u32 s82, s66                                      // 0000000082BC: BF0A4252
	s_cselect_b32 s20, s36, s60                                // 0000000082C0: 85143C24
	v_readlane_b32 s82, v3, 25                                 // 0000000082C4: D2890052 00013303
	s_and_b32 s82, s82, 0xffffff                               // 0000000082CC: 8652FF52 00FFFFFF
	s_cmp_lt_u32 s82, s66                                      // 0000000082D4: BF0A4252
	s_cselect_b32 s21, s36, s60                                // 0000000082D8: 85153C24
	s_mov_b64 exec, s[20:21]                                   // 0000000082DC: BEFE0114
	global_atomic_add_f32 v6, v114, s[8:9] offset:8            // 0000000082E0: DD348008 00087206
	s_mov_b64 exec, s[36:37]                                   // 0000000082E8: BEFE0124
	v_mov_b32_e32 v6, v79                                      // 0000000082EC: 7E0C034F
	s_mov_b64 s[60:61], 0                                      // 0000000082F0: BEBC0180
	v_readlane_b32 s82, v3, 26                                 // 0000000082F4: D2890052 00013503
	s_and_b32 s82, s82, 0xffffff                               // 0000000082FC: 8652FF52 00FFFFFF
	s_cmp_lt_u32 s82, s66                                      // 000000008304: BF0A4252
	s_cselect_b32 s20, s36, s60                                // 000000008308: 85143C24
	v_readlane_b32 s82, v3, 27                                 // 00000000830C: D2890052 00013703
	s_and_b32 s82, s82, 0xffffff                               // 000000008314: 8652FF52 00FFFFFF
	s_cmp_lt_u32 s82, s66                                      // 00000000831C: BF0A4252
	s_cselect_b32 s21, s36, s60                                // 000000008320: 85153C24
	s_mov_b64 exec, s[20:21]                                   // 000000008324: BEFE0114
	global_atomic_add_f32 v6, v115, s[8:9] offset:8            // 000000008328: DD348008 00087306
	s_mov_b64 exec, s[36:37]                                   // 000000008330: BEFE0124
	v_mov_b32_e32 v6, v80                                      // 000000008334: 7E0C0350
	s_mov_b64 s[60:61], 0                                      // 000000008338: BEBC0180
	v_readlane_b32 s82, v3, 28                                 // 00000000833C: D2890052 00013903
	s_and_b32 s82, s82, 0xffffff                               // 000000008344: 8652FF52 00FFFFFF
	s_cmp_lt_u32 s82, s66                                      // 00000000834C: BF0A4252
	s_cselect_b32 s20, s36, s60                                // 000000008350: 85143C24
	v_readlane_b32 s82, v3, 29                                 // 000000008354: D2890052 00013B03
	s_and_b32 s82, s82, 0xffffff                               // 00000000835C: 8652FF52 00FFFFFF
	s_cmp_lt_u32 s82, s66                                      // 000000008364: BF0A4252
	s_cselect_b32 s21, s36, s60                                // 000000008368: 85153C24
	s_mov_b64 exec, s[20:21]                                   // 00000000836C: BEFE0114
	global_atomic_add_f32 v6, v118, s[8:9] offset:8            // 000000008370: DD348008 00087606
	s_mov_b64 exec, s[36:37]                                   // 000000008378: BEFE0124
	v_mov_b32_e32 v6, v81                                      // 00000000837C: 7E0C0351
	s_mov_b64 s[60:61], 0                                      // 000000008380: BEBC0180
	v_readlane_b32 s82, v3, 30                                 // 000000008384: D2890052 00013D03
	s_and_b32 s82, s82, 0xffffff                               // 00000000838C: 8652FF52 00FFFFFF
	s_cmp_lt_u32 s82, s66                                      // 000000008394: BF0A4252
	s_cselect_b32 s20, s36, s60                                // 000000008398: 85143C24
	v_readlane_b32 s82, v3, 31                                 // 00000000839C: D2890052 00013F03
	s_and_b32 s82, s82, 0xffffff                               // 0000000083A4: 8652FF52 00FFFFFF
	s_cmp_lt_u32 s82, s66                                      // 0000000083AC: BF0A4252
	s_cselect_b32 s21, s36, s60                                // 0000000083B0: 85153C24
	s_mov_b64 exec, s[20:21]                                   // 0000000083B4: BEFE0114
	global_atomic_add_f32 v6, v119, s[8:9] offset:8            // 0000000083B8: DD348008 00087706
	s_mov_b64 exec, s[36:37]                                   // 0000000083C0: BEFE0124
	v_mov_b32_e32 v6, v82                                      // 0000000083C4: 7E0C0352
	s_mov_b64 s[60:61], 0                                      // 0000000083C8: BEBC0180
	v_readlane_b32 s82, v3, 32                                 // 0000000083CC: D2890052 00014103
	s_and_b32 s82, s82, 0xffffff                               // 0000000083D4: 8652FF52 00FFFFFF
	s_cmp_lt_u32 s82, s66                                      // 0000000083DC: BF0A4252
	s_cselect_b32 s20, s36, s60                                // 0000000083E0: 85143C24
	v_readlane_b32 s82, v3, 33                                 // 0000000083E4: D2890052 00014303
	s_and_b32 s82, s82, 0xffffff                               // 0000000083EC: 8652FF52 00FFFFFF
	s_cmp_lt_u32 s82, s66                                      // 0000000083F4: BF0A4252
	s_cselect_b32 s21, s36, s60                                // 0000000083F8: 85153C24
	s_mov_b64 exec, s[20:21]                                   // 0000000083FC: BEFE0114
	global_atomic_add_f32 v6, v122, s[8:9] offset:8            // 000000008400: DD348008 00087A06
	s_mov_b64 exec, s[36:37]                                   // 000000008408: BEFE0124
	v_mov_b32_e32 v6, v83                                      // 00000000840C: 7E0C0353
	s_mov_b64 s[60:61], 0                                      // 000000008410: BEBC0180
	v_readlane_b32 s82, v3, 34                                 // 000000008414: D2890052 00014503
	s_and_b32 s82, s82, 0xffffff                               // 00000000841C: 8652FF52 00FFFFFF
	s_cmp_lt_u32 s82, s66                                      // 000000008424: BF0A4252
	s_cselect_b32 s20, s36, s60                                // 000000008428: 85143C24
	v_readlane_b32 s82, v3, 35                                 // 00000000842C: D2890052 00014703
	s_and_b32 s82, s82, 0xffffff                               // 000000008434: 8652FF52 00FFFFFF
	s_cmp_lt_u32 s82, s66                                      // 00000000843C: BF0A4252
	s_cselect_b32 s21, s36, s60                                // 000000008440: 85153C24
	s_mov_b64 exec, s[20:21]                                   // 000000008444: BEFE0114
	global_atomic_add_f32 v6, v123, s[8:9] offset:8            // 000000008448: DD348008 00087B06
	s_mov_b64 exec, s[36:37]                                   // 000000008450: BEFE0124
	ds_write_b64 v20, v[124:125]                               // 000000008454: D89A0000 00007C14
	ds_write_b64 v20, v[128:129] offset:2176                   // 00000000845C: D89A0880 00008014
	ds_write_b64 v20, v[132:133] offset:4352                   // 000000008464: D89A1100 00008414
	ds_write_b64 v20, v[136:137] offset:6528                   // 00000000846C: D89A1980 00008814
	ds_write_b64 v20, v[140:141] offset:8704                   // 000000008474: D89A2200 00008C14
	ds_write_b64 v20, v[144:145] offset:10880                  // 00000000847C: D89A2A80 00009014
	ds_write_b64 v20, v[148:149] offset:13056                  // 000000008484: D89A3300 00009414
	ds_write_b64 v20, v[152:153] offset:15232                  // 00000000848C: D89A3B80 00009814
	ds_write_b64 v20, v[156:157] offset:17408                  // 000000008494: D89A4400 00009C14
	s_waitcnt lgkmcnt(0)                                       // 00000000849C: BF8CC07F
	s_barrier                                                  // 0000000084A0: BF8A0000
	ds_read_b32 v124, v21                                      // 0000000084A4: D86C0000 7C000015
	ds_read_b32 v125, v21 offset:64                            // 0000000084AC: D86C0040 7D000015
	ds_read_b32 v128, v21 offset:2176                          // 0000000084B4: D86C0880 80000015
	ds_read_b32 v129, v21 offset:2240                          // 0000000084BC: D86C08C0 81000015
	ds_read_b32 v132, v21 offset:4352                          // 0000000084C4: D86C1100 84000015
	ds_read_b32 v133, v21 offset:4416                          // 0000000084CC: D86C1140 85000015
	ds_read_b32 v136, v21 offset:6528                          // 0000000084D4: D86C1980 88000015
	ds_read_b32 v137, v21 offset:6592                          // 0000000084DC: D86C19C0 89000015
	ds_read_b32 v140, v21 offset:8704                          // 0000000084E4: D86C2200 8C000015
	ds_read_b32 v141, v21 offset:8768                          // 0000000084EC: D86C2240 8D000015
	ds_read_b32 v144, v21 offset:10880                         // 0000000084F4: D86C2A80 90000015
	ds_read_b32 v145, v21 offset:10944                         // 0000000084FC: D86C2AC0 91000015
	ds_read_b32 v148, v21 offset:13056                         // 000000008504: D86C3300 94000015
	ds_read_b32 v149, v21 offset:13120                         // 00000000850C: D86C3340 95000015
	ds_read_b32 v152, v21 offset:15232                         // 000000008514: D86C3B80 98000015
	ds_read_b32 v153, v21 offset:15296                         // 00000000851C: D86C3BC0 99000015
	ds_read_b32 v156, v21 offset:17408                         // 000000008524: D86C4400 9C000015
	ds_read_b32 v157, v21 offset:17472                         // 00000000852C: D86C4440 9D000015
	s_mul_i32 s60, s65, 4                                      // 000000008534: 923C8441
	s_add_u32 s8, s60, s8                                      // 000000008538: 8008083C
	s_addc_u32 s9, 0, s9                                       // 00000000853C: 82090980
	s_waitcnt lgkmcnt(0)                                       // 000000008540: BF8CC07F
	v_mov_b32_e32 v7, 0                                        // 000000008544: 7E0E0280
	s_mov_b64 exec, s[36:37]                                   // 000000008548: BEFE0124
	v_mov_b32_e32 v6, v66                                      // 00000000854C: 7E0C0342
	s_mov_b64 s[60:61], 0                                      // 000000008550: BEBC0180
	v_readlane_b32 s82, v3, 0                                  // 000000008554: D2890052 00010103
	s_and_b32 s82, s82, 0xffffff                               // 00000000855C: 8652FF52 00FFFFFF
	s_cmp_lt_u32 s82, s66                                      // 000000008564: BF0A4252
	s_cselect_b32 s20, s36, s60                                // 000000008568: 85143C24
	v_readlane_b32 s82, v3, 1                                  // 00000000856C: D2890052 00010303
	s_and_b32 s82, s82, 0xffffff                               // 000000008574: 8652FF52 00FFFFFF
	s_cmp_lt_u32 s82, s66                                      // 00000000857C: BF0A4252
	s_cselect_b32 s21, s36, s60                                // 000000008580: 85153C24
	s_mov_b64 exec, s[20:21]                                   // 000000008584: BEFE0114
	global_atomic_add_f32 v6, v124, s[8:9]                     // 000000008588: DD348000 00087C06
	s_mov_b64 exec, s[36:37]                                   // 000000008590: BEFE0124
	v_mov_b32_e32 v6, v67                                      // 000000008594: 7E0C0343
	s_mov_b64 s[60:61], 0                                      // 000000008598: BEBC0180
	v_readlane_b32 s82, v3, 2                                  // 00000000859C: D2890052 00010503
	s_and_b32 s82, s82, 0xffffff                               // 0000000085A4: 8652FF52 00FFFFFF
	s_cmp_lt_u32 s82, s66                                      // 0000000085AC: BF0A4252
	s_cselect_b32 s20, s36, s60                                // 0000000085B0: 85143C24
	v_readlane_b32 s82, v3, 3                                  // 0000000085B4: D2890052 00010703
	s_and_b32 s82, s82, 0xffffff                               // 0000000085BC: 8652FF52 00FFFFFF
	s_cmp_lt_u32 s82, s66                                      // 0000000085C4: BF0A4252
	s_cselect_b32 s21, s36, s60                                // 0000000085C8: 85153C24
	s_mov_b64 exec, s[20:21]                                   // 0000000085CC: BEFE0114
	global_atomic_add_f32 v6, v125, s[8:9]                     // 0000000085D0: DD348000 00087D06
	s_mov_b64 exec, s[36:37]                                   // 0000000085D8: BEFE0124
	v_mov_b32_e32 v6, v68                                      // 0000000085DC: 7E0C0344
	s_mov_b64 s[60:61], 0                                      // 0000000085E0: BEBC0180
	v_readlane_b32 s82, v3, 4                                  // 0000000085E4: D2890052 00010903
	s_and_b32 s82, s82, 0xffffff                               // 0000000085EC: 8652FF52 00FFFFFF
	s_cmp_lt_u32 s82, s66                                      // 0000000085F4: BF0A4252
	s_cselect_b32 s20, s36, s60                                // 0000000085F8: 85143C24
	v_readlane_b32 s82, v3, 5                                  // 0000000085FC: D2890052 00010B03
	s_and_b32 s82, s82, 0xffffff                               // 000000008604: 8652FF52 00FFFFFF
	s_cmp_lt_u32 s82, s66                                      // 00000000860C: BF0A4252
	s_cselect_b32 s21, s36, s60                                // 000000008610: 85153C24
	s_mov_b64 exec, s[20:21]                                   // 000000008614: BEFE0114
	global_atomic_add_f32 v6, v128, s[8:9]                     // 000000008618: DD348000 00088006
	s_mov_b64 exec, s[36:37]                                   // 000000008620: BEFE0124
	v_mov_b32_e32 v6, v69                                      // 000000008624: 7E0C0345
	s_mov_b64 s[60:61], 0                                      // 000000008628: BEBC0180
	v_readlane_b32 s82, v3, 6                                  // 00000000862C: D2890052 00010D03
	s_and_b32 s82, s82, 0xffffff                               // 000000008634: 8652FF52 00FFFFFF
	s_cmp_lt_u32 s82, s66                                      // 00000000863C: BF0A4252
	s_cselect_b32 s20, s36, s60                                // 000000008640: 85143C24
	v_readlane_b32 s82, v3, 7                                  // 000000008644: D2890052 00010F03
	s_and_b32 s82, s82, 0xffffff                               // 00000000864C: 8652FF52 00FFFFFF
	s_cmp_lt_u32 s82, s66                                      // 000000008654: BF0A4252
	s_cselect_b32 s21, s36, s60                                // 000000008658: 85153C24
	s_mov_b64 exec, s[20:21]                                   // 00000000865C: BEFE0114
	global_atomic_add_f32 v6, v129, s[8:9]                     // 000000008660: DD348000 00088106
	s_mov_b64 exec, s[36:37]                                   // 000000008668: BEFE0124
	v_mov_b32_e32 v6, v70                                      // 00000000866C: 7E0C0346
	s_mov_b64 s[60:61], 0                                      // 000000008670: BEBC0180
	v_readlane_b32 s82, v3, 8                                  // 000000008674: D2890052 00011103
	s_and_b32 s82, s82, 0xffffff                               // 00000000867C: 8652FF52 00FFFFFF
	s_cmp_lt_u32 s82, s66                                      // 000000008684: BF0A4252
	s_cselect_b32 s20, s36, s60                                // 000000008688: 85143C24
	v_readlane_b32 s82, v3, 9                                  // 00000000868C: D2890052 00011303
	s_and_b32 s82, s82, 0xffffff                               // 000000008694: 8652FF52 00FFFFFF
	s_cmp_lt_u32 s82, s66                                      // 00000000869C: BF0A4252
	s_cselect_b32 s21, s36, s60                                // 0000000086A0: 85153C24
	s_mov_b64 exec, s[20:21]                                   // 0000000086A4: BEFE0114
	global_atomic_add_f32 v6, v132, s[8:9]                     // 0000000086A8: DD348000 00088406
	s_mov_b64 exec, s[36:37]                                   // 0000000086B0: BEFE0124
	v_mov_b32_e32 v6, v71                                      // 0000000086B4: 7E0C0347
	s_mov_b64 s[60:61], 0                                      // 0000000086B8: BEBC0180
	v_readlane_b32 s82, v3, 10                                 // 0000000086BC: D2890052 00011503
	s_and_b32 s82, s82, 0xffffff                               // 0000000086C4: 8652FF52 00FFFFFF
	s_cmp_lt_u32 s82, s66                                      // 0000000086CC: BF0A4252
	s_cselect_b32 s20, s36, s60                                // 0000000086D0: 85143C24
	v_readlane_b32 s82, v3, 11                                 // 0000000086D4: D2890052 00011703
	s_and_b32 s82, s82, 0xffffff                               // 0000000086DC: 8652FF52 00FFFFFF
	s_cmp_lt_u32 s82, s66                                      // 0000000086E4: BF0A4252
	s_cselect_b32 s21, s36, s60                                // 0000000086E8: 85153C24
	s_mov_b64 exec, s[20:21]                                   // 0000000086EC: BEFE0114
	global_atomic_add_f32 v6, v133, s[8:9]                     // 0000000086F0: DD348000 00088506
	s_mov_b64 exec, s[36:37]                                   // 0000000086F8: BEFE0124
	v_mov_b32_e32 v6, v72                                      // 0000000086FC: 7E0C0348
	s_mov_b64 s[60:61], 0                                      // 000000008700: BEBC0180
	v_readlane_b32 s82, v3, 12                                 // 000000008704: D2890052 00011903
	s_and_b32 s82, s82, 0xffffff                               // 00000000870C: 8652FF52 00FFFFFF
	s_cmp_lt_u32 s82, s66                                      // 000000008714: BF0A4252
	s_cselect_b32 s20, s36, s60                                // 000000008718: 85143C24
	v_readlane_b32 s82, v3, 13                                 // 00000000871C: D2890052 00011B03
	s_and_b32 s82, s82, 0xffffff                               // 000000008724: 8652FF52 00FFFFFF
	s_cmp_lt_u32 s82, s66                                      // 00000000872C: BF0A4252
	s_cselect_b32 s21, s36, s60                                // 000000008730: 85153C24
	s_mov_b64 exec, s[20:21]                                   // 000000008734: BEFE0114
	global_atomic_add_f32 v6, v136, s[8:9]                     // 000000008738: DD348000 00088806
	s_mov_b64 exec, s[36:37]                                   // 000000008740: BEFE0124
	v_mov_b32_e32 v6, v73                                      // 000000008744: 7E0C0349
	s_mov_b64 s[60:61], 0                                      // 000000008748: BEBC0180
	v_readlane_b32 s82, v3, 14                                 // 00000000874C: D2890052 00011D03
	s_and_b32 s82, s82, 0xffffff                               // 000000008754: 8652FF52 00FFFFFF
	s_cmp_lt_u32 s82, s66                                      // 00000000875C: BF0A4252
	s_cselect_b32 s20, s36, s60                                // 000000008760: 85143C24
	v_readlane_b32 s82, v3, 15                                 // 000000008764: D2890052 00011F03
	s_and_b32 s82, s82, 0xffffff                               // 00000000876C: 8652FF52 00FFFFFF
	s_cmp_lt_u32 s82, s66                                      // 000000008774: BF0A4252
	s_cselect_b32 s21, s36, s60                                // 000000008778: 85153C24
	s_mov_b64 exec, s[20:21]                                   // 00000000877C: BEFE0114
	global_atomic_add_f32 v6, v137, s[8:9]                     // 000000008780: DD348000 00088906
	s_mov_b64 exec, s[36:37]                                   // 000000008788: BEFE0124
	v_mov_b32_e32 v6, v74                                      // 00000000878C: 7E0C034A
	s_mov_b64 s[60:61], 0                                      // 000000008790: BEBC0180
	v_readlane_b32 s82, v3, 16                                 // 000000008794: D2890052 00012103
	s_and_b32 s82, s82, 0xffffff                               // 00000000879C: 8652FF52 00FFFFFF
	s_cmp_lt_u32 s82, s66                                      // 0000000087A4: BF0A4252
	s_cselect_b32 s20, s36, s60                                // 0000000087A8: 85143C24
	v_readlane_b32 s82, v3, 17                                 // 0000000087AC: D2890052 00012303
	s_and_b32 s82, s82, 0xffffff                               // 0000000087B4: 8652FF52 00FFFFFF
	s_cmp_lt_u32 s82, s66                                      // 0000000087BC: BF0A4252
	s_cselect_b32 s21, s36, s60                                // 0000000087C0: 85153C24
	s_mov_b64 exec, s[20:21]                                   // 0000000087C4: BEFE0114
	global_atomic_add_f32 v6, v140, s[8:9]                     // 0000000087C8: DD348000 00088C06
	s_mov_b64 exec, s[36:37]                                   // 0000000087D0: BEFE0124
	v_mov_b32_e32 v6, v75                                      // 0000000087D4: 7E0C034B
	s_mov_b64 s[60:61], 0                                      // 0000000087D8: BEBC0180
	v_readlane_b32 s82, v3, 18                                 // 0000000087DC: D2890052 00012503
	s_and_b32 s82, s82, 0xffffff                               // 0000000087E4: 8652FF52 00FFFFFF
	s_cmp_lt_u32 s82, s66                                      // 0000000087EC: BF0A4252
	s_cselect_b32 s20, s36, s60                                // 0000000087F0: 85143C24
	v_readlane_b32 s82, v3, 19                                 // 0000000087F4: D2890052 00012703
	s_and_b32 s82, s82, 0xffffff                               // 0000000087FC: 8652FF52 00FFFFFF
	s_cmp_lt_u32 s82, s66                                      // 000000008804: BF0A4252
	s_cselect_b32 s21, s36, s60                                // 000000008808: 85153C24
	s_mov_b64 exec, s[20:21]                                   // 00000000880C: BEFE0114
	global_atomic_add_f32 v6, v141, s[8:9]                     // 000000008810: DD348000 00088D06
	s_mov_b64 exec, s[36:37]                                   // 000000008818: BEFE0124
	v_mov_b32_e32 v6, v76                                      // 00000000881C: 7E0C034C
	s_mov_b64 s[60:61], 0                                      // 000000008820: BEBC0180
	v_readlane_b32 s82, v3, 20                                 // 000000008824: D2890052 00012903
	s_and_b32 s82, s82, 0xffffff                               // 00000000882C: 8652FF52 00FFFFFF
	s_cmp_lt_u32 s82, s66                                      // 000000008834: BF0A4252
	s_cselect_b32 s20, s36, s60                                // 000000008838: 85143C24
	v_readlane_b32 s82, v3, 21                                 // 00000000883C: D2890052 00012B03
	s_and_b32 s82, s82, 0xffffff                               // 000000008844: 8652FF52 00FFFFFF
	s_cmp_lt_u32 s82, s66                                      // 00000000884C: BF0A4252
	s_cselect_b32 s21, s36, s60                                // 000000008850: 85153C24
	s_mov_b64 exec, s[20:21]                                   // 000000008854: BEFE0114
	global_atomic_add_f32 v6, v144, s[8:9]                     // 000000008858: DD348000 00089006
	s_mov_b64 exec, s[36:37]                                   // 000000008860: BEFE0124
	v_mov_b32_e32 v6, v77                                      // 000000008864: 7E0C034D
	s_mov_b64 s[60:61], 0                                      // 000000008868: BEBC0180
	v_readlane_b32 s82, v3, 22                                 // 00000000886C: D2890052 00012D03
	s_and_b32 s82, s82, 0xffffff                               // 000000008874: 8652FF52 00FFFFFF
	s_cmp_lt_u32 s82, s66                                      // 00000000887C: BF0A4252
	s_cselect_b32 s20, s36, s60                                // 000000008880: 85143C24
	v_readlane_b32 s82, v3, 23                                 // 000000008884: D2890052 00012F03
	s_and_b32 s82, s82, 0xffffff                               // 00000000888C: 8652FF52 00FFFFFF
	s_cmp_lt_u32 s82, s66                                      // 000000008894: BF0A4252
	s_cselect_b32 s21, s36, s60                                // 000000008898: 85153C24
	s_mov_b64 exec, s[20:21]                                   // 00000000889C: BEFE0114
	global_atomic_add_f32 v6, v145, s[8:9]                     // 0000000088A0: DD348000 00089106
	s_mov_b64 exec, s[36:37]                                   // 0000000088A8: BEFE0124
	v_mov_b32_e32 v6, v78                                      // 0000000088AC: 7E0C034E
	s_mov_b64 s[60:61], 0                                      // 0000000088B0: BEBC0180
	v_readlane_b32 s82, v3, 24                                 // 0000000088B4: D2890052 00013103
	s_and_b32 s82, s82, 0xffffff                               // 0000000088BC: 8652FF52 00FFFFFF
	s_cmp_lt_u32 s82, s66                                      // 0000000088C4: BF0A4252
	s_cselect_b32 s20, s36, s60                                // 0000000088C8: 85143C24
	v_readlane_b32 s82, v3, 25                                 // 0000000088CC: D2890052 00013303
	s_and_b32 s82, s82, 0xffffff                               // 0000000088D4: 8652FF52 00FFFFFF
	s_cmp_lt_u32 s82, s66                                      // 0000000088DC: BF0A4252
	s_cselect_b32 s21, s36, s60                                // 0000000088E0: 85153C24
	s_mov_b64 exec, s[20:21]                                   // 0000000088E4: BEFE0114
	global_atomic_add_f32 v6, v148, s[8:9]                     // 0000000088E8: DD348000 00089406
	s_mov_b64 exec, s[36:37]                                   // 0000000088F0: BEFE0124
	v_mov_b32_e32 v6, v79                                      // 0000000088F4: 7E0C034F
	s_mov_b64 s[60:61], 0                                      // 0000000088F8: BEBC0180
	v_readlane_b32 s82, v3, 26                                 // 0000000088FC: D2890052 00013503
	s_and_b32 s82, s82, 0xffffff                               // 000000008904: 8652FF52 00FFFFFF
	s_cmp_lt_u32 s82, s66                                      // 00000000890C: BF0A4252
	s_cselect_b32 s20, s36, s60                                // 000000008910: 85143C24
	v_readlane_b32 s82, v3, 27                                 // 000000008914: D2890052 00013703
	s_and_b32 s82, s82, 0xffffff                               // 00000000891C: 8652FF52 00FFFFFF
	s_cmp_lt_u32 s82, s66                                      // 000000008924: BF0A4252
	s_cselect_b32 s21, s36, s60                                // 000000008928: 85153C24
	s_mov_b64 exec, s[20:21]                                   // 00000000892C: BEFE0114
	global_atomic_add_f32 v6, v149, s[8:9]                     // 000000008930: DD348000 00089506
	s_mov_b64 exec, s[36:37]                                   // 000000008938: BEFE0124
	v_mov_b32_e32 v6, v80                                      // 00000000893C: 7E0C0350
	s_mov_b64 s[60:61], 0                                      // 000000008940: BEBC0180
	v_readlane_b32 s82, v3, 28                                 // 000000008944: D2890052 00013903
	s_and_b32 s82, s82, 0xffffff                               // 00000000894C: 8652FF52 00FFFFFF
	s_cmp_lt_u32 s82, s66                                      // 000000008954: BF0A4252
	s_cselect_b32 s20, s36, s60                                // 000000008958: 85143C24
	v_readlane_b32 s82, v3, 29                                 // 00000000895C: D2890052 00013B03
	s_and_b32 s82, s82, 0xffffff                               // 000000008964: 8652FF52 00FFFFFF
	s_cmp_lt_u32 s82, s66                                      // 00000000896C: BF0A4252
	s_cselect_b32 s21, s36, s60                                // 000000008970: 85153C24
	s_mov_b64 exec, s[20:21]                                   // 000000008974: BEFE0114
	global_atomic_add_f32 v6, v152, s[8:9]                     // 000000008978: DD348000 00089806
	s_mov_b64 exec, s[36:37]                                   // 000000008980: BEFE0124
	v_mov_b32_e32 v6, v81                                      // 000000008984: 7E0C0351
	s_mov_b64 s[60:61], 0                                      // 000000008988: BEBC0180
	v_readlane_b32 s82, v3, 30                                 // 00000000898C: D2890052 00013D03
	s_and_b32 s82, s82, 0xffffff                               // 000000008994: 8652FF52 00FFFFFF
	s_cmp_lt_u32 s82, s66                                      // 00000000899C: BF0A4252
	s_cselect_b32 s20, s36, s60                                // 0000000089A0: 85143C24
	v_readlane_b32 s82, v3, 31                                 // 0000000089A4: D2890052 00013F03
	s_and_b32 s82, s82, 0xffffff                               // 0000000089AC: 8652FF52 00FFFFFF
	s_cmp_lt_u32 s82, s66                                      // 0000000089B4: BF0A4252
	s_cselect_b32 s21, s36, s60                                // 0000000089B8: 85153C24
	s_mov_b64 exec, s[20:21]                                   // 0000000089BC: BEFE0114
	global_atomic_add_f32 v6, v153, s[8:9]                     // 0000000089C0: DD348000 00089906
	s_mov_b64 exec, s[36:37]                                   // 0000000089C8: BEFE0124
	v_mov_b32_e32 v6, v82                                      // 0000000089CC: 7E0C0352
	s_mov_b64 s[60:61], 0                                      // 0000000089D0: BEBC0180
	v_readlane_b32 s82, v3, 32                                 // 0000000089D4: D2890052 00014103
	s_and_b32 s82, s82, 0xffffff                               // 0000000089DC: 8652FF52 00FFFFFF
	s_cmp_lt_u32 s82, s66                                      // 0000000089E4: BF0A4252
	s_cselect_b32 s20, s36, s60                                // 0000000089E8: 85143C24
	v_readlane_b32 s82, v3, 33                                 // 0000000089EC: D2890052 00014303
	s_and_b32 s82, s82, 0xffffff                               // 0000000089F4: 8652FF52 00FFFFFF
	s_cmp_lt_u32 s82, s66                                      // 0000000089FC: BF0A4252
	s_cselect_b32 s21, s36, s60                                // 000000008A00: 85153C24
	s_mov_b64 exec, s[20:21]                                   // 000000008A04: BEFE0114
	global_atomic_add_f32 v6, v156, s[8:9]                     // 000000008A08: DD348000 00089C06
	s_mov_b64 exec, s[36:37]                                   // 000000008A10: BEFE0124
	v_mov_b32_e32 v6, v83                                      // 000000008A14: 7E0C0353
	s_mov_b64 s[60:61], 0                                      // 000000008A18: BEBC0180
	v_readlane_b32 s82, v3, 34                                 // 000000008A1C: D2890052 00014503
	s_and_b32 s82, s82, 0xffffff                               // 000000008A24: 8652FF52 00FFFFFF
	s_cmp_lt_u32 s82, s66                                      // 000000008A2C: BF0A4252
	s_cselect_b32 s20, s36, s60                                // 000000008A30: 85143C24
	v_readlane_b32 s82, v3, 35                                 // 000000008A34: D2890052 00014703
	s_and_b32 s82, s82, 0xffffff                               // 000000008A3C: 8652FF52 00FFFFFF
	s_cmp_lt_u32 s82, s66                                      // 000000008A44: BF0A4252
	s_cselect_b32 s21, s36, s60                                // 000000008A48: 85153C24
	s_mov_b64 exec, s[20:21]                                   // 000000008A4C: BEFE0114
	global_atomic_add_f32 v6, v157, s[8:9]                     // 000000008A50: DD348000 00089D06
	s_mov_b64 exec, s[36:37]                                   // 000000008A58: BEFE0124
	ds_write_b64 v20, v[126:127]                               // 000000008A5C: D89A0000 00007E14
	ds_write_b64 v20, v[130:131] offset:2176                   // 000000008A64: D89A0880 00008214
	ds_write_b64 v20, v[134:135] offset:4352                   // 000000008A6C: D89A1100 00008614
	ds_write_b64 v20, v[138:139] offset:6528                   // 000000008A74: D89A1980 00008A14
	ds_write_b64 v20, v[142:143] offset:8704                   // 000000008A7C: D89A2200 00008E14
	ds_write_b64 v20, v[146:147] offset:10880                  // 000000008A84: D89A2A80 00009214
	ds_write_b64 v20, v[150:151] offset:13056                  // 000000008A8C: D89A3300 00009614
	ds_write_b64 v20, v[154:155] offset:15232                  // 000000008A94: D89A3B80 00009A14
	ds_write_b64 v20, v[158:159] offset:17408                  // 000000008A9C: D89A4400 00009E14
	s_waitcnt lgkmcnt(0)                                       // 000000008AA4: BF8CC07F
	s_barrier                                                  // 000000008AA8: BF8A0000
	ds_read_b32 v126, v21                                      // 000000008AAC: D86C0000 7E000015
	ds_read_b32 v127, v21 offset:64                            // 000000008AB4: D86C0040 7F000015
	ds_read_b32 v130, v21 offset:2176                          // 000000008ABC: D86C0880 82000015
	ds_read_b32 v131, v21 offset:2240                          // 000000008AC4: D86C08C0 83000015
	ds_read_b32 v134, v21 offset:4352                          // 000000008ACC: D86C1100 86000015
	ds_read_b32 v135, v21 offset:4416                          // 000000008AD4: D86C1140 87000015
	ds_read_b32 v138, v21 offset:6528                          // 000000008ADC: D86C1980 8A000015
	ds_read_b32 v139, v21 offset:6592                          // 000000008AE4: D86C19C0 8B000015
	ds_read_b32 v142, v21 offset:8704                          // 000000008AEC: D86C2200 8E000015
	ds_read_b32 v143, v21 offset:8768                          // 000000008AF4: D86C2240 8F000015
	ds_read_b32 v146, v21 offset:10880                         // 000000008AFC: D86C2A80 92000015
	ds_read_b32 v147, v21 offset:10944                         // 000000008B04: D86C2AC0 93000015
	ds_read_b32 v150, v21 offset:13056                         // 000000008B0C: D86C3300 96000015
	ds_read_b32 v151, v21 offset:13120                         // 000000008B14: D86C3340 97000015
	ds_read_b32 v154, v21 offset:15232                         // 000000008B1C: D86C3B80 9A000015
	ds_read_b32 v155, v21 offset:15296                         // 000000008B24: D86C3BC0 9B000015
	ds_read_b32 v158, v21 offset:17408                         // 000000008B2C: D86C4400 9E000015
	ds_read_b32 v159, v21 offset:17472                         // 000000008B34: D86C4440 9F000015
	s_waitcnt lgkmcnt(0)                                       // 000000008B3C: BF8CC07F
	v_mov_b32_e32 v7, 0                                        // 000000008B40: 7E0E0280
	s_mov_b64 exec, s[36:37]                                   // 000000008B44: BEFE0124
	v_mov_b32_e32 v6, v66                                      // 000000008B48: 7E0C0342
	s_mov_b64 s[60:61], 0                                      // 000000008B4C: BEBC0180
	v_readlane_b32 s82, v3, 0                                  // 000000008B50: D2890052 00010103
	s_and_b32 s82, s82, 0xffffff                               // 000000008B58: 8652FF52 00FFFFFF
	s_cmp_lt_u32 s82, s66                                      // 000000008B60: BF0A4252
	s_cselect_b32 s20, s36, s60                                // 000000008B64: 85143C24
	v_readlane_b32 s82, v3, 1                                  // 000000008B68: D2890052 00010303
	s_and_b32 s82, s82, 0xffffff                               // 000000008B70: 8652FF52 00FFFFFF
	s_cmp_lt_u32 s82, s66                                      // 000000008B78: BF0A4252
	s_cselect_b32 s21, s36, s60                                // 000000008B7C: 85153C24
	s_mov_b64 exec, s[20:21]                                   // 000000008B80: BEFE0114
	global_atomic_add_f32 v6, v126, s[8:9] offset:8            // 000000008B84: DD348008 00087E06
	s_mov_b64 exec, s[36:37]                                   // 000000008B8C: BEFE0124
	v_mov_b32_e32 v6, v67                                      // 000000008B90: 7E0C0343
	s_mov_b64 s[60:61], 0                                      // 000000008B94: BEBC0180
	v_readlane_b32 s82, v3, 2                                  // 000000008B98: D2890052 00010503
	s_and_b32 s82, s82, 0xffffff                               // 000000008BA0: 8652FF52 00FFFFFF
	s_cmp_lt_u32 s82, s66                                      // 000000008BA8: BF0A4252
	s_cselect_b32 s20, s36, s60                                // 000000008BAC: 85143C24
	v_readlane_b32 s82, v3, 3                                  // 000000008BB0: D2890052 00010703
	s_and_b32 s82, s82, 0xffffff                               // 000000008BB8: 8652FF52 00FFFFFF
	s_cmp_lt_u32 s82, s66                                      // 000000008BC0: BF0A4252
	s_cselect_b32 s21, s36, s60                                // 000000008BC4: 85153C24
	s_mov_b64 exec, s[20:21]                                   // 000000008BC8: BEFE0114
	global_atomic_add_f32 v6, v127, s[8:9] offset:8            // 000000008BCC: DD348008 00087F06
	s_mov_b64 exec, s[36:37]                                   // 000000008BD4: BEFE0124
	v_mov_b32_e32 v6, v68                                      // 000000008BD8: 7E0C0344
	s_mov_b64 s[60:61], 0                                      // 000000008BDC: BEBC0180
	v_readlane_b32 s82, v3, 4                                  // 000000008BE0: D2890052 00010903
	s_and_b32 s82, s82, 0xffffff                               // 000000008BE8: 8652FF52 00FFFFFF
	s_cmp_lt_u32 s82, s66                                      // 000000008BF0: BF0A4252
	s_cselect_b32 s20, s36, s60                                // 000000008BF4: 85143C24
	v_readlane_b32 s82, v3, 5                                  // 000000008BF8: D2890052 00010B03
	s_and_b32 s82, s82, 0xffffff                               // 000000008C00: 8652FF52 00FFFFFF
	s_cmp_lt_u32 s82, s66                                      // 000000008C08: BF0A4252
	s_cselect_b32 s21, s36, s60                                // 000000008C0C: 85153C24
	s_mov_b64 exec, s[20:21]                                   // 000000008C10: BEFE0114
	global_atomic_add_f32 v6, v130, s[8:9] offset:8            // 000000008C14: DD348008 00088206
	s_mov_b64 exec, s[36:37]                                   // 000000008C1C: BEFE0124
	v_mov_b32_e32 v6, v69                                      // 000000008C20: 7E0C0345
	s_mov_b64 s[60:61], 0                                      // 000000008C24: BEBC0180
	v_readlane_b32 s82, v3, 6                                  // 000000008C28: D2890052 00010D03
	s_and_b32 s82, s82, 0xffffff                               // 000000008C30: 8652FF52 00FFFFFF
	s_cmp_lt_u32 s82, s66                                      // 000000008C38: BF0A4252
	s_cselect_b32 s20, s36, s60                                // 000000008C3C: 85143C24
	v_readlane_b32 s82, v3, 7                                  // 000000008C40: D2890052 00010F03
	s_and_b32 s82, s82, 0xffffff                               // 000000008C48: 8652FF52 00FFFFFF
	s_cmp_lt_u32 s82, s66                                      // 000000008C50: BF0A4252
	s_cselect_b32 s21, s36, s60                                // 000000008C54: 85153C24
	s_mov_b64 exec, s[20:21]                                   // 000000008C58: BEFE0114
	global_atomic_add_f32 v6, v131, s[8:9] offset:8            // 000000008C5C: DD348008 00088306
	s_mov_b64 exec, s[36:37]                                   // 000000008C64: BEFE0124
	v_mov_b32_e32 v6, v70                                      // 000000008C68: 7E0C0346
	s_mov_b64 s[60:61], 0                                      // 000000008C6C: BEBC0180
	v_readlane_b32 s82, v3, 8                                  // 000000008C70: D2890052 00011103
	s_and_b32 s82, s82, 0xffffff                               // 000000008C78: 8652FF52 00FFFFFF
	s_cmp_lt_u32 s82, s66                                      // 000000008C80: BF0A4252
	s_cselect_b32 s20, s36, s60                                // 000000008C84: 85143C24
	v_readlane_b32 s82, v3, 9                                  // 000000008C88: D2890052 00011303
	s_and_b32 s82, s82, 0xffffff                               // 000000008C90: 8652FF52 00FFFFFF
	s_cmp_lt_u32 s82, s66                                      // 000000008C98: BF0A4252
	s_cselect_b32 s21, s36, s60                                // 000000008C9C: 85153C24
	s_mov_b64 exec, s[20:21]                                   // 000000008CA0: BEFE0114
	global_atomic_add_f32 v6, v134, s[8:9] offset:8            // 000000008CA4: DD348008 00088606
	s_mov_b64 exec, s[36:37]                                   // 000000008CAC: BEFE0124
	v_mov_b32_e32 v6, v71                                      // 000000008CB0: 7E0C0347
	s_mov_b64 s[60:61], 0                                      // 000000008CB4: BEBC0180
	v_readlane_b32 s82, v3, 10                                 // 000000008CB8: D2890052 00011503
	s_and_b32 s82, s82, 0xffffff                               // 000000008CC0: 8652FF52 00FFFFFF
	s_cmp_lt_u32 s82, s66                                      // 000000008CC8: BF0A4252
	s_cselect_b32 s20, s36, s60                                // 000000008CCC: 85143C24
	v_readlane_b32 s82, v3, 11                                 // 000000008CD0: D2890052 00011703
	s_and_b32 s82, s82, 0xffffff                               // 000000008CD8: 8652FF52 00FFFFFF
	s_cmp_lt_u32 s82, s66                                      // 000000008CE0: BF0A4252
	s_cselect_b32 s21, s36, s60                                // 000000008CE4: 85153C24
	s_mov_b64 exec, s[20:21]                                   // 000000008CE8: BEFE0114
	global_atomic_add_f32 v6, v135, s[8:9] offset:8            // 000000008CEC: DD348008 00088706
	s_mov_b64 exec, s[36:37]                                   // 000000008CF4: BEFE0124
	v_mov_b32_e32 v6, v72                                      // 000000008CF8: 7E0C0348
	s_mov_b64 s[60:61], 0                                      // 000000008CFC: BEBC0180
	v_readlane_b32 s82, v3, 12                                 // 000000008D00: D2890052 00011903
	s_and_b32 s82, s82, 0xffffff                               // 000000008D08: 8652FF52 00FFFFFF
	s_cmp_lt_u32 s82, s66                                      // 000000008D10: BF0A4252
	s_cselect_b32 s20, s36, s60                                // 000000008D14: 85143C24
	v_readlane_b32 s82, v3, 13                                 // 000000008D18: D2890052 00011B03
	s_and_b32 s82, s82, 0xffffff                               // 000000008D20: 8652FF52 00FFFFFF
	s_cmp_lt_u32 s82, s66                                      // 000000008D28: BF0A4252
	s_cselect_b32 s21, s36, s60                                // 000000008D2C: 85153C24
	s_mov_b64 exec, s[20:21]                                   // 000000008D30: BEFE0114
	global_atomic_add_f32 v6, v138, s[8:9] offset:8            // 000000008D34: DD348008 00088A06
	s_mov_b64 exec, s[36:37]                                   // 000000008D3C: BEFE0124
	v_mov_b32_e32 v6, v73                                      // 000000008D40: 7E0C0349
	s_mov_b64 s[60:61], 0                                      // 000000008D44: BEBC0180
	v_readlane_b32 s82, v3, 14                                 // 000000008D48: D2890052 00011D03
	s_and_b32 s82, s82, 0xffffff                               // 000000008D50: 8652FF52 00FFFFFF
	s_cmp_lt_u32 s82, s66                                      // 000000008D58: BF0A4252
	s_cselect_b32 s20, s36, s60                                // 000000008D5C: 85143C24
	v_readlane_b32 s82, v3, 15                                 // 000000008D60: D2890052 00011F03
	s_and_b32 s82, s82, 0xffffff                               // 000000008D68: 8652FF52 00FFFFFF
	s_cmp_lt_u32 s82, s66                                      // 000000008D70: BF0A4252
	s_cselect_b32 s21, s36, s60                                // 000000008D74: 85153C24
	s_mov_b64 exec, s[20:21]                                   // 000000008D78: BEFE0114
	global_atomic_add_f32 v6, v139, s[8:9] offset:8            // 000000008D7C: DD348008 00088B06
	s_mov_b64 exec, s[36:37]                                   // 000000008D84: BEFE0124
	v_mov_b32_e32 v6, v74                                      // 000000008D88: 7E0C034A
	s_mov_b64 s[60:61], 0                                      // 000000008D8C: BEBC0180
	v_readlane_b32 s82, v3, 16                                 // 000000008D90: D2890052 00012103
	s_and_b32 s82, s82, 0xffffff                               // 000000008D98: 8652FF52 00FFFFFF
	s_cmp_lt_u32 s82, s66                                      // 000000008DA0: BF0A4252
	s_cselect_b32 s20, s36, s60                                // 000000008DA4: 85143C24
	v_readlane_b32 s82, v3, 17                                 // 000000008DA8: D2890052 00012303
	s_and_b32 s82, s82, 0xffffff                               // 000000008DB0: 8652FF52 00FFFFFF
	s_cmp_lt_u32 s82, s66                                      // 000000008DB8: BF0A4252
	s_cselect_b32 s21, s36, s60                                // 000000008DBC: 85153C24
	s_mov_b64 exec, s[20:21]                                   // 000000008DC0: BEFE0114
	global_atomic_add_f32 v6, v142, s[8:9] offset:8            // 000000008DC4: DD348008 00088E06
	s_mov_b64 exec, s[36:37]                                   // 000000008DCC: BEFE0124
	v_mov_b32_e32 v6, v75                                      // 000000008DD0: 7E0C034B
	s_mov_b64 s[60:61], 0                                      // 000000008DD4: BEBC0180
	v_readlane_b32 s82, v3, 18                                 // 000000008DD8: D2890052 00012503
	s_and_b32 s82, s82, 0xffffff                               // 000000008DE0: 8652FF52 00FFFFFF
	s_cmp_lt_u32 s82, s66                                      // 000000008DE8: BF0A4252
	s_cselect_b32 s20, s36, s60                                // 000000008DEC: 85143C24
	v_readlane_b32 s82, v3, 19                                 // 000000008DF0: D2890052 00012703
	s_and_b32 s82, s82, 0xffffff                               // 000000008DF8: 8652FF52 00FFFFFF
	s_cmp_lt_u32 s82, s66                                      // 000000008E00: BF0A4252
	s_cselect_b32 s21, s36, s60                                // 000000008E04: 85153C24
	s_mov_b64 exec, s[20:21]                                   // 000000008E08: BEFE0114
	global_atomic_add_f32 v6, v143, s[8:9] offset:8            // 000000008E0C: DD348008 00088F06
	s_mov_b64 exec, s[36:37]                                   // 000000008E14: BEFE0124
	v_mov_b32_e32 v6, v76                                      // 000000008E18: 7E0C034C
	s_mov_b64 s[60:61], 0                                      // 000000008E1C: BEBC0180
	v_readlane_b32 s82, v3, 20                                 // 000000008E20: D2890052 00012903
	s_and_b32 s82, s82, 0xffffff                               // 000000008E28: 8652FF52 00FFFFFF
	s_cmp_lt_u32 s82, s66                                      // 000000008E30: BF0A4252
	s_cselect_b32 s20, s36, s60                                // 000000008E34: 85143C24
	v_readlane_b32 s82, v3, 21                                 // 000000008E38: D2890052 00012B03
	s_and_b32 s82, s82, 0xffffff                               // 000000008E40: 8652FF52 00FFFFFF
	s_cmp_lt_u32 s82, s66                                      // 000000008E48: BF0A4252
	s_cselect_b32 s21, s36, s60                                // 000000008E4C: 85153C24
	s_mov_b64 exec, s[20:21]                                   // 000000008E50: BEFE0114
	global_atomic_add_f32 v6, v146, s[8:9] offset:8            // 000000008E54: DD348008 00089206
	s_mov_b64 exec, s[36:37]                                   // 000000008E5C: BEFE0124
	v_mov_b32_e32 v6, v77                                      // 000000008E60: 7E0C034D
	s_mov_b64 s[60:61], 0                                      // 000000008E64: BEBC0180
	v_readlane_b32 s82, v3, 22                                 // 000000008E68: D2890052 00012D03
	s_and_b32 s82, s82, 0xffffff                               // 000000008E70: 8652FF52 00FFFFFF
	s_cmp_lt_u32 s82, s66                                      // 000000008E78: BF0A4252
	s_cselect_b32 s20, s36, s60                                // 000000008E7C: 85143C24
	v_readlane_b32 s82, v3, 23                                 // 000000008E80: D2890052 00012F03
	s_and_b32 s82, s82, 0xffffff                               // 000000008E88: 8652FF52 00FFFFFF
	s_cmp_lt_u32 s82, s66                                      // 000000008E90: BF0A4252
	s_cselect_b32 s21, s36, s60                                // 000000008E94: 85153C24
	s_mov_b64 exec, s[20:21]                                   // 000000008E98: BEFE0114
	global_atomic_add_f32 v6, v147, s[8:9] offset:8            // 000000008E9C: DD348008 00089306
	s_mov_b64 exec, s[36:37]                                   // 000000008EA4: BEFE0124
	v_mov_b32_e32 v6, v78                                      // 000000008EA8: 7E0C034E
	s_mov_b64 s[60:61], 0                                      // 000000008EAC: BEBC0180
	v_readlane_b32 s82, v3, 24                                 // 000000008EB0: D2890052 00013103
	s_and_b32 s82, s82, 0xffffff                               // 000000008EB8: 8652FF52 00FFFFFF
	s_cmp_lt_u32 s82, s66                                      // 000000008EC0: BF0A4252
	s_cselect_b32 s20, s36, s60                                // 000000008EC4: 85143C24
	v_readlane_b32 s82, v3, 25                                 // 000000008EC8: D2890052 00013303
	s_and_b32 s82, s82, 0xffffff                               // 000000008ED0: 8652FF52 00FFFFFF
	s_cmp_lt_u32 s82, s66                                      // 000000008ED8: BF0A4252
	s_cselect_b32 s21, s36, s60                                // 000000008EDC: 85153C24
	s_mov_b64 exec, s[20:21]                                   // 000000008EE0: BEFE0114
	global_atomic_add_f32 v6, v150, s[8:9] offset:8            // 000000008EE4: DD348008 00089606
	s_mov_b64 exec, s[36:37]                                   // 000000008EEC: BEFE0124
	v_mov_b32_e32 v6, v79                                      // 000000008EF0: 7E0C034F
	s_mov_b64 s[60:61], 0                                      // 000000008EF4: BEBC0180
	v_readlane_b32 s82, v3, 26                                 // 000000008EF8: D2890052 00013503
	s_and_b32 s82, s82, 0xffffff                               // 000000008F00: 8652FF52 00FFFFFF
	s_cmp_lt_u32 s82, s66                                      // 000000008F08: BF0A4252
	s_cselect_b32 s20, s36, s60                                // 000000008F0C: 85143C24
	v_readlane_b32 s82, v3, 27                                 // 000000008F10: D2890052 00013703
	s_and_b32 s82, s82, 0xffffff                               // 000000008F18: 8652FF52 00FFFFFF
	s_cmp_lt_u32 s82, s66                                      // 000000008F20: BF0A4252
	s_cselect_b32 s21, s36, s60                                // 000000008F24: 85153C24
	s_mov_b64 exec, s[20:21]                                   // 000000008F28: BEFE0114
	global_atomic_add_f32 v6, v151, s[8:9] offset:8            // 000000008F2C: DD348008 00089706
	s_mov_b64 exec, s[36:37]                                   // 000000008F34: BEFE0124
	v_mov_b32_e32 v6, v80                                      // 000000008F38: 7E0C0350
	s_mov_b64 s[60:61], 0                                      // 000000008F3C: BEBC0180
	v_readlane_b32 s82, v3, 28                                 // 000000008F40: D2890052 00013903
	s_and_b32 s82, s82, 0xffffff                               // 000000008F48: 8652FF52 00FFFFFF
	s_cmp_lt_u32 s82, s66                                      // 000000008F50: BF0A4252
	s_cselect_b32 s20, s36, s60                                // 000000008F54: 85143C24
	v_readlane_b32 s82, v3, 29                                 // 000000008F58: D2890052 00013B03
	s_and_b32 s82, s82, 0xffffff                               // 000000008F60: 8652FF52 00FFFFFF
	s_cmp_lt_u32 s82, s66                                      // 000000008F68: BF0A4252
	s_cselect_b32 s21, s36, s60                                // 000000008F6C: 85153C24
	s_mov_b64 exec, s[20:21]                                   // 000000008F70: BEFE0114
	global_atomic_add_f32 v6, v154, s[8:9] offset:8            // 000000008F74: DD348008 00089A06
	s_mov_b64 exec, s[36:37]                                   // 000000008F7C: BEFE0124
	v_mov_b32_e32 v6, v81                                      // 000000008F80: 7E0C0351
	s_mov_b64 s[60:61], 0                                      // 000000008F84: BEBC0180
	v_readlane_b32 s82, v3, 30                                 // 000000008F88: D2890052 00013D03
	s_and_b32 s82, s82, 0xffffff                               // 000000008F90: 8652FF52 00FFFFFF
	s_cmp_lt_u32 s82, s66                                      // 000000008F98: BF0A4252
	s_cselect_b32 s20, s36, s60                                // 000000008F9C: 85143C24
	v_readlane_b32 s82, v3, 31                                 // 000000008FA0: D2890052 00013F03
	s_and_b32 s82, s82, 0xffffff                               // 000000008FA8: 8652FF52 00FFFFFF
	s_cmp_lt_u32 s82, s66                                      // 000000008FB0: BF0A4252
	s_cselect_b32 s21, s36, s60                                // 000000008FB4: 85153C24
	s_mov_b64 exec, s[20:21]                                   // 000000008FB8: BEFE0114
	global_atomic_add_f32 v6, v155, s[8:9] offset:8            // 000000008FBC: DD348008 00089B06
	s_mov_b64 exec, s[36:37]                                   // 000000008FC4: BEFE0124
	v_mov_b32_e32 v6, v82                                      // 000000008FC8: 7E0C0352
	s_mov_b64 s[60:61], 0                                      // 000000008FCC: BEBC0180
	v_readlane_b32 s82, v3, 32                                 // 000000008FD0: D2890052 00014103
	s_and_b32 s82, s82, 0xffffff                               // 000000008FD8: 8652FF52 00FFFFFF
	s_cmp_lt_u32 s82, s66                                      // 000000008FE0: BF0A4252
	s_cselect_b32 s20, s36, s60                                // 000000008FE4: 85143C24
	v_readlane_b32 s82, v3, 33                                 // 000000008FE8: D2890052 00014303
	s_and_b32 s82, s82, 0xffffff                               // 000000008FF0: 8652FF52 00FFFFFF
	s_cmp_lt_u32 s82, s66                                      // 000000008FF8: BF0A4252
	s_cselect_b32 s21, s36, s60                                // 000000008FFC: 85153C24
	s_mov_b64 exec, s[20:21]                                   // 000000009000: BEFE0114
	global_atomic_add_f32 v6, v158, s[8:9] offset:8            // 000000009004: DD348008 00089E06
	s_mov_b64 exec, s[36:37]                                   // 00000000900C: BEFE0124
	v_mov_b32_e32 v6, v83                                      // 000000009010: 7E0C0353
	s_mov_b64 s[60:61], 0                                      // 000000009014: BEBC0180
	v_readlane_b32 s82, v3, 34                                 // 000000009018: D2890052 00014503
	s_and_b32 s82, s82, 0xffffff                               // 000000009020: 8652FF52 00FFFFFF
	s_cmp_lt_u32 s82, s66                                      // 000000009028: BF0A4252
	s_cselect_b32 s20, s36, s60                                // 00000000902C: 85143C24
	v_readlane_b32 s82, v3, 35                                 // 000000009030: D2890052 00014703
	s_and_b32 s82, s82, 0xffffff                               // 000000009038: 8652FF52 00FFFFFF
	s_cmp_lt_u32 s82, s66                                      // 000000009040: BF0A4252
	s_cselect_b32 s21, s36, s60                                // 000000009044: 85153C24
	s_mov_b64 exec, s[20:21]                                   // 000000009048: BEFE0114
	global_atomic_add_f32 v6, v159, s[8:9] offset:8            // 00000000904C: DD348008 00089F06
	s_mov_b64 exec, s[36:37]                                   // 000000009054: BEFE0124
	s_branch label_2F7B                                        // 000000009058: BF8215E1

000000000000905c <label_199A>:
	s_waitcnt vmcnt(20) lgkmcnt(0)                             // 00000000905C: BF8C4074
	v_mfma_f32_16x16x32_fp8_fp8 v[88:91], a[144:145], a[0:1], v[88:91]// 000000009060: D3F30058 1D620190
	buffer_load_dwordx4 a[160:163], v84, s[24:27], 0 offen     // 000000009068: E05C1000 8086A054
	v_mfma_f32_16x16x32_fp8_fp8 v[88:91], a[146:147], a[2:3], v[88:91]// 000000009070: D3F30058 1D620592
	v_mfma_f32_16x16x32_fp8_fp8 v[88:91], a[148:149], a[4:5], v[88:91]// 000000009078: D3F30058 1D620994
	v_mfma_f32_16x16x32_fp8_fp8 v[88:91], a[150:151], a[6:7], v[88:91]// 000000009080: D3F30058 1D620D96
	v_mfma_f32_16x16x32_fp8_fp8 v[92:95], a[144:145], a[8:9], v[92:95]// 000000009088: D3F3005C 1D721190
	buffer_load_dwordx4 a[164:167], v84, s[24:27], 0 offen offset:1024// 000000009090: E05C1400 8086A454
	buffer_load_dword v66, s[20:23], 0 offen lds               // 000000009098: E0511000 80050042
	s_add_u32 m0, 0x100, s50                                   // 0000000090A0: 807C32FF 00000100
	v_mfma_f32_16x16x32_fp8_fp8 v[92:95], a[146:147], a[10:11], v[92:95]// 0000000090A8: D3F3005C 1D721592
	v_mfma_f32_16x16x32_fp8_fp8 v[92:95], a[148:149], a[12:13], v[92:95]// 0000000090B0: D3F3005C 1D721994
	buffer_load_dword v67, s[20:23], 0 offen lds               // 0000000090B8: E0511000 80050043
	s_add_u32 m0, 0x200, s50                                   // 0000000090C0: 807C32FF 00000200
	v_mfma_f32_16x16x32_fp8_fp8 v[92:95], a[150:151], a[14:15], v[92:95]// 0000000090C8: D3F3005C 1D721D96
	v_mfma_f32_16x16x32_fp8_fp8 v[96:99], a[144:145], a[16:17], v[96:99]// 0000000090D0: D3F30060 1D822190
	buffer_load_dword v68, s[20:23], 0 offen lds               // 0000000090D8: E0511000 80050044
	s_add_u32 m0, 0x300, s50                                   // 0000000090E0: 807C32FF 00000300
	v_mfma_f32_16x16x32_fp8_fp8 v[96:99], a[146:147], a[18:19], v[96:99]// 0000000090E8: D3F30060 1D822592
	v_mfma_f32_16x16x32_fp8_fp8 v[96:99], a[148:149], a[20:21], v[96:99]// 0000000090F0: D3F30060 1D822994
	buffer_load_dword v69, s[20:23], 0 offen lds               // 0000000090F8: E0511000 80050045
	s_add_u32 m0, 0x400, s50                                   // 000000009100: 807C32FF 00000400
	v_mfma_f32_16x16x32_fp8_fp8 v[96:99], a[150:151], a[22:23], v[96:99]// 000000009108: D3F30060 1D822D96
	v_mfma_f32_16x16x32_fp8_fp8 v[100:103], a[144:145], a[24:25], v[100:103]// 000000009110: D3F30064 1D923190
	buffer_load_dword v70, s[20:23], 0 offen lds               // 000000009118: E0511000 80050046
	s_add_u32 m0, 0x500, s50                                   // 000000009120: 807C32FF 00000500
	v_mfma_f32_16x16x32_fp8_fp8 v[100:103], a[146:147], a[26:27], v[100:103]// 000000009128: D3F30064 1D923592
	v_mfma_f32_16x16x32_fp8_fp8 v[100:103], a[148:149], a[28:29], v[100:103]// 000000009130: D3F30064 1D923994
	buffer_load_dword v71, s[20:23], 0 offen lds               // 000000009138: E0511000 80050047
	s_add_u32 m0, 0x600, s50                                   // 000000009140: 807C32FF 00000600
	v_mfma_f32_16x16x32_fp8_fp8 v[100:103], a[150:151], a[30:31], v[100:103]// 000000009148: D3F30064 1D923D96
	v_mfma_f32_16x16x32_fp8_fp8 v[104:107], a[144:145], a[32:33], v[104:107]// 000000009150: D3F30068 1DA24190
	buffer_load_dword v72, s[20:23], 0 offen lds               // 000000009158: E0511000 80050048
	s_add_u32 m0, 0x700, s50                                   // 000000009160: 807C32FF 00000700
	v_mfma_f32_16x16x32_fp8_fp8 v[104:107], a[146:147], a[34:35], v[104:107]// 000000009168: D3F30068 1DA24592
	v_mfma_f32_16x16x32_fp8_fp8 v[104:107], a[148:149], a[36:37], v[104:107]// 000000009170: D3F30068 1DA24994
	buffer_load_dword v73, s[20:23], 0 offen lds               // 000000009178: E0511000 80050049
	s_add_u32 m0, 0x800, s50                                   // 000000009180: 807C32FF 00000800
	v_mfma_f32_16x16x32_fp8_fp8 v[104:107], a[150:151], a[38:39], v[104:107]// 000000009188: D3F30068 1DA24D96
	v_mfma_f32_16x16x32_fp8_fp8 v[108:111], a[144:145], a[40:41], v[108:111]// 000000009190: D3F3006C 1DB25190
	buffer_load_dword v74, s[20:23], 0 offen lds               // 000000009198: E0511000 8005004A
	s_add_u32 m0, 0x900, s50                                   // 0000000091A0: 807C32FF 00000900
	v_mfma_f32_16x16x32_fp8_fp8 v[108:111], a[146:147], a[42:43], v[108:111]// 0000000091A8: D3F3006C 1DB25592
	v_mfma_f32_16x16x32_fp8_fp8 v[108:111], a[148:149], a[44:45], v[108:111]// 0000000091B0: D3F3006C 1DB25994
	buffer_load_dword v75, s[20:23], 0 offen lds               // 0000000091B8: E0511000 8005004B
	s_add_u32 m0, 0xa00, s50                                   // 0000000091C0: 807C32FF 00000A00
	v_mfma_f32_16x16x32_fp8_fp8 v[108:111], a[150:151], a[46:47], v[108:111]// 0000000091C8: D3F3006C 1DB25D96
	v_mfma_f32_16x16x32_fp8_fp8 v[112:115], a[144:145], a[48:49], v[112:115]// 0000000091D0: D3F30070 1DC26190
	buffer_load_dword v76, s[20:23], 0 offen lds               // 0000000091D8: E0511000 8005004C
	s_add_u32 m0, 0xb00, s50                                   // 0000000091E0: 807C32FF 00000B00
	v_mfma_f32_16x16x32_fp8_fp8 v[112:115], a[146:147], a[50:51], v[112:115]// 0000000091E8: D3F30070 1DC26592
	v_mfma_f32_16x16x32_fp8_fp8 v[112:115], a[148:149], a[52:53], v[112:115]// 0000000091F0: D3F30070 1DC26994
	buffer_load_dword v77, s[20:23], 0 offen lds               // 0000000091F8: E0511000 8005004D
	s_add_u32 m0, 0xc00, s50                                   // 000000009200: 807C32FF 00000C00
	v_mfma_f32_16x16x32_fp8_fp8 v[112:115], a[150:151], a[54:55], v[112:115]// 000000009208: D3F30070 1DC26D96
	v_mfma_f32_16x16x32_fp8_fp8 v[116:119], a[144:145], a[56:57], v[116:119]// 000000009210: D3F30074 1DD27190
	buffer_load_dword v78, s[20:23], 0 offen lds               // 000000009218: E0511000 8005004E
	s_add_u32 m0, 0xd00, s50                                   // 000000009220: 807C32FF 00000D00
	v_mfma_f32_16x16x32_fp8_fp8 v[116:119], a[146:147], a[58:59], v[116:119]// 000000009228: D3F30074 1DD27592
	v_mfma_f32_16x16x32_fp8_fp8 v[116:119], a[148:149], a[60:61], v[116:119]// 000000009230: D3F30074 1DD27994
	buffer_load_dword v79, s[20:23], 0 offen lds               // 000000009238: E0511000 8005004F
	s_add_u32 m0, 0xe00, s50                                   // 000000009240: 807C32FF 00000E00
	v_mfma_f32_16x16x32_fp8_fp8 v[116:119], a[150:151], a[62:63], v[116:119]// 000000009248: D3F30074 1DD27D96
	v_mfma_f32_16x16x32_fp8_fp8 v[120:123], a[144:145], a[64:65], v[120:123]// 000000009250: D3F30078 1DE28190
	buffer_load_dword v80, s[20:23], 0 offen lds               // 000000009258: E0511000 80050050
	s_add_u32 m0, 0xf00, s50                                   // 000000009260: 807C32FF 00000F00
	v_mfma_f32_16x16x32_fp8_fp8 v[120:123], a[146:147], a[66:67], v[120:123]// 000000009268: D3F30078 1DE28592
	v_mfma_f32_16x16x32_fp8_fp8 v[120:123], a[148:149], a[68:69], v[120:123]// 000000009270: D3F30078 1DE28994
	buffer_load_dword v81, s[20:23], 0 offen lds               // 000000009278: E0511000 80050051
	s_add_u32 m0, 0x1000, s50                                  // 000000009280: 807C32FF 00001000
	v_mfma_f32_16x16x32_fp8_fp8 v[120:123], a[150:151], a[70:71], v[120:123]// 000000009288: D3F30078 1DE28D96
	buffer_load_dword v82, s[20:23], 0 offen lds               // 000000009290: E0511000 80050052
	s_add_u32 m0, 0x1100, s50                                  // 000000009298: 807C32FF 00001100
	buffer_load_dword v83, s[20:23], 0 offen lds               // 0000000092A0: E0511000 80050053
	s_add_u32 m0, 0, s48                                       // 0000000092A8: 807C3080
	s_waitcnt vmcnt(20)                                        // 0000000092AC: BF8C4F74
	s_barrier                                                  // 0000000092B0: BF8A0000
	v_mfma_f32_16x16x32_fp8_fp8 v[124:127], a[152:153], a[0:1], v[124:127]// 0000000092B4: D3F3007C 1DF20198
	buffer_load_dwordx4 a[144:147], v84, s[84:87], 0 offen     // 0000000092BC: E05C1000 80959054
	v_mfma_f32_16x16x32_fp8_fp8 v[124:127], a[154:155], a[2:3], v[124:127]// 0000000092C4: D3F3007C 1DF2059A
	v_mfma_f32_16x16x32_fp8_fp8 v[124:127], a[156:157], a[4:5], v[124:127]// 0000000092CC: D3F3007C 1DF2099C
	ds_read_b128 a[72:75], v2 offset:18560                     // 0000000092D4: DBFE4880 48000002
	ds_read_b128 a[76:79], v2 offset:18624                     // 0000000092DC: DBFE48C0 4C000002
	v_mfma_f32_16x16x32_fp8_fp8 v[124:127], a[158:159], a[6:7], v[124:127]// 0000000092E4: D3F3007C 1DF20D9E
	v_mfma_f32_16x16x32_fp8_fp8 v[128:131], a[152:153], a[8:9], v[128:131]// 0000000092EC: D3F30080 1E021198
	buffer_load_dwordx4 a[148:151], v84, s[84:87], 0 offen offset:1024// 0000000092F4: E05C1400 80959454
	v_mfma_f32_16x16x32_fp8_fp8 v[128:131], a[154:155], a[10:11], v[128:131]// 0000000092FC: D3F30080 1E02159A
	v_mfma_f32_16x16x32_fp8_fp8 v[128:131], a[156:157], a[12:13], v[128:131]// 000000009304: D3F30080 1E02199C
	ds_read_b128 a[80:83], v2 offset:19072                     // 00000000930C: DBFE4A80 50000002
	ds_read_b128 a[84:87], v2 offset:19136                     // 000000009314: DBFE4AC0 54000002
	v_mfma_f32_16x16x32_fp8_fp8 v[128:131], a[158:159], a[14:15], v[128:131]// 00000000931C: D3F30080 1E021D9E
	v_mfma_f32_16x16x32_fp8_fp8 v[132:135], a[152:153], a[16:17], v[132:135]// 000000009324: D3F30084 1E122198
	v_mfma_f32_16x16x32_fp8_fp8 v[132:135], a[154:155], a[18:19], v[132:135]// 00000000932C: D3F30084 1E12259A
	v_mfma_f32_16x16x32_fp8_fp8 v[132:135], a[156:157], a[20:21], v[132:135]// 000000009334: D3F30084 1E12299C
	ds_read_b128 a[88:91], v2 offset:19584                     // 00000000933C: DBFE4C80 58000002
	ds_read_b128 a[92:95], v2 offset:19648                     // 000000009344: DBFE4CC0 5C000002
	v_mfma_f32_16x16x32_fp8_fp8 v[132:135], a[158:159], a[22:23], v[132:135]// 00000000934C: D3F30084 1E122D9E
	v_mfma_f32_16x16x32_fp8_fp8 v[136:139], a[152:153], a[24:25], v[136:139]// 000000009354: D3F30088 1E223198
	v_mfma_f32_16x16x32_fp8_fp8 v[136:139], a[154:155], a[26:27], v[136:139]// 00000000935C: D3F30088 1E22359A
	v_mfma_f32_16x16x32_fp8_fp8 v[136:139], a[156:157], a[28:29], v[136:139]// 000000009364: D3F30088 1E22399C
	ds_read_b128 a[96:99], v2 offset:20096                     // 00000000936C: DBFE4E80 60000002
	ds_read_b128 a[100:103], v2 offset:20160                   // 000000009374: DBFE4EC0 64000002
	v_mfma_f32_16x16x32_fp8_fp8 v[136:139], a[158:159], a[30:31], v[136:139]// 00000000937C: D3F30088 1E223D9E
	v_mfma_f32_16x16x32_fp8_fp8 v[140:143], a[152:153], a[32:33], v[140:143]// 000000009384: D3F3008C 1E324198
	v_mfma_f32_16x16x32_fp8_fp8 v[140:143], a[154:155], a[34:35], v[140:143]// 00000000938C: D3F3008C 1E32459A
	v_mfma_f32_16x16x32_fp8_fp8 v[140:143], a[156:157], a[36:37], v[140:143]// 000000009394: D3F3008C 1E32499C
	ds_read_b128 a[104:107], v2 offset:20608                   // 00000000939C: DBFE5080 68000002
	ds_read_b128 a[108:111], v2 offset:20672                   // 0000000093A4: DBFE50C0 6C000002
	v_mfma_f32_16x16x32_fp8_fp8 v[140:143], a[158:159], a[38:39], v[140:143]// 0000000093AC: D3F3008C 1E324D9E
	v_mfma_f32_16x16x32_fp8_fp8 v[144:147], a[152:153], a[40:41], v[144:147]// 0000000093B4: D3F30090 1E425198
	v_mfma_f32_16x16x32_fp8_fp8 v[144:147], a[154:155], a[42:43], v[144:147]// 0000000093BC: D3F30090 1E42559A
	v_mfma_f32_16x16x32_fp8_fp8 v[144:147], a[156:157], a[44:45], v[144:147]// 0000000093C4: D3F30090 1E42599C
	ds_read_b128 a[112:115], v2 offset:21120                   // 0000000093CC: DBFE5280 70000002
	ds_read_b128 a[116:119], v2 offset:21184                   // 0000000093D4: DBFE52C0 74000002
	v_mfma_f32_16x16x32_fp8_fp8 v[144:147], a[158:159], a[46:47], v[144:147]// 0000000093DC: D3F30090 1E425D9E
	v_mfma_f32_16x16x32_fp8_fp8 v[148:151], a[152:153], a[48:49], v[148:151]// 0000000093E4: D3F30094 1E526198
	v_mfma_f32_16x16x32_fp8_fp8 v[148:151], a[154:155], a[50:51], v[148:151]// 0000000093EC: D3F30094 1E52659A
	v_mfma_f32_16x16x32_fp8_fp8 v[148:151], a[156:157], a[52:53], v[148:151]// 0000000093F4: D3F30094 1E52699C
	ds_read_b128 a[120:123], v2 offset:21632                   // 0000000093FC: DBFE5480 78000002
	ds_read_b128 a[124:127], v2 offset:21696                   // 000000009404: DBFE54C0 7C000002
	v_mfma_f32_16x16x32_fp8_fp8 v[148:151], a[158:159], a[54:55], v[148:151]// 00000000940C: D3F30094 1E526D9E
	v_mfma_f32_16x16x32_fp8_fp8 v[152:155], a[152:153], a[56:57], v[152:155]// 000000009414: D3F30098 1E627198
	s_add_u32 s60, 0x180, s80                                  // 00000000941C: 803C50FF 00000180
	s_cmp_lt_u32 s60, s81                                      // 000000009424: BF0A513C
	s_cselect_b32 s57, s57, 0                                  // 000000009428: 85398039
	v_mfma_f32_16x16x32_fp8_fp8 v[152:155], a[154:155], a[58:59], v[152:155]// 00000000942C: D3F30098 1E62759A
	s_add_u32 s60, 0x100, s80                                  // 000000009434: 803C50FF 00000100
	s_cmp_lt_u32 s60, s81                                      // 00000000943C: BF0A513C
	s_cselect_b32 s58, s58, 0                                  // 000000009440: 853A803A
	v_mfma_f32_16x16x32_fp8_fp8 v[152:155], a[156:157], a[60:61], v[152:155]// 000000009444: D3F30098 1E62799C
	ds_read_b128 a[128:131], v2 offset:22144                   // 00000000944C: DBFE5680 80000002
	ds_read_b128 a[132:135], v2 offset:22208                   // 000000009454: DBFE56C0 84000002
	s_add_u32 s60, 0x100, s80                                  // 00000000945C: 803C50FF 00000100
	s_cmp_lt_u32 s60, s81                                      // 000000009464: BF0A513C
	s_cselect_b32 s83, s83, 0                                  // 000000009468: 85538053
	v_mfma_f32_16x16x32_fp8_fp8 v[152:155], a[158:159], a[62:63], v[152:155]// 00000000946C: D3F30098 1E627D9E
	s_add_u32 s24, s58, s24                                    // 000000009474: 8018183A
	s_addc_u32 s25, 0, s25                                     // 000000009478: 82191980
	v_mfma_f32_16x16x32_fp8_fp8 v[156:159], a[152:153], a[64:65], v[156:159]// 00000000947C: D3F3009C 1E728198
	s_add_u32 s20, s57, s20                                    // 000000009484: 80141439
	s_addc_u32 s21, 0, s21                                     // 000000009488: 82151580
	v_mfma_f32_16x16x32_fp8_fp8 v[156:159], a[154:155], a[66:67], v[156:159]// 00000000948C: D3F3009C 1E72859A
	s_add_u32 s84, s83, s84                                    // 000000009494: 80545453
	s_addc_u32 s85, 0, s85                                     // 000000009498: 82555580
	v_mfma_f32_16x16x32_fp8_fp8 v[156:159], a[156:157], a[68:69], v[156:159]// 00000000949C: D3F3009C 1E72899C
	ds_read_b128 a[136:139], v2 offset:22656                   // 0000000094A4: DBFE5880 88000002
	ds_read_b128 a[140:143], v2 offset:22720                   // 0000000094AC: DBFE58C0 8C000002
	v_mfma_f32_16x16x32_fp8_fp8 v[156:159], a[158:159], a[70:71], v[156:159]// 0000000094B4: D3F3009C 1E728D9E
	s_addk_i32 s80, 0x80                                       // 0000000094BC: B7500080
	s_cmp_lt_i32 s80, s81                                      // 0000000094C0: BF045150
	s_cbranch_scc0 label_203D                                  // 0000000094C4: BF840588
	s_waitcnt vmcnt(20) lgkmcnt(0)                             // 0000000094C8: BF8C4074
	v_mfma_f32_16x16x32_fp8_fp8 v[88:91], a[160:161], a[72:73], v[88:91]// 0000000094CC: D3F30058 1D6291A0
	buffer_load_dwordx4 a[152:155], v84, s[24:27], 0 offen     // 0000000094D4: E05C1000 80869854
	v_mfma_f32_16x16x32_fp8_fp8 v[88:91], a[162:163], a[74:75], v[88:91]// 0000000094DC: D3F30058 1D6295A2
	v_mfma_f32_16x16x32_fp8_fp8 v[88:91], a[164:165], a[76:77], v[88:91]// 0000000094E4: D3F30058 1D6299A4
	v_mfma_f32_16x16x32_fp8_fp8 v[88:91], a[166:167], a[78:79], v[88:91]// 0000000094EC: D3F30058 1D629DA6
	v_mfma_f32_16x16x32_fp8_fp8 v[92:95], a[160:161], a[80:81], v[92:95]// 0000000094F4: D3F3005C 1D72A1A0
	buffer_load_dwordx4 a[156:159], v84, s[24:27], 0 offen offset:1024// 0000000094FC: E05C1400 80869C54
	buffer_load_dword v66, s[20:23], 0 offen lds               // 000000009504: E0511000 80050042
	s_add_u32 m0, 0x100, s48                                   // 00000000950C: 807C30FF 00000100
	v_mfma_f32_16x16x32_fp8_fp8 v[92:95], a[162:163], a[82:83], v[92:95]// 000000009514: D3F3005C 1D72A5A2
	v_mfma_f32_16x16x32_fp8_fp8 v[92:95], a[164:165], a[84:85], v[92:95]// 00000000951C: D3F3005C 1D72A9A4
	buffer_load_dword v67, s[20:23], 0 offen lds               // 000000009524: E0511000 80050043
	s_add_u32 m0, 0x200, s48                                   // 00000000952C: 807C30FF 00000200
	v_mfma_f32_16x16x32_fp8_fp8 v[92:95], a[166:167], a[86:87], v[92:95]// 000000009534: D3F3005C 1D72ADA6
	v_mfma_f32_16x16x32_fp8_fp8 v[96:99], a[160:161], a[88:89], v[96:99]// 00000000953C: D3F30060 1D82B1A0
	buffer_load_dword v68, s[20:23], 0 offen lds               // 000000009544: E0511000 80050044
	s_add_u32 m0, 0x300, s48                                   // 00000000954C: 807C30FF 00000300
	v_mfma_f32_16x16x32_fp8_fp8 v[96:99], a[162:163], a[90:91], v[96:99]// 000000009554: D3F30060 1D82B5A2
	v_mfma_f32_16x16x32_fp8_fp8 v[96:99], a[164:165], a[92:93], v[96:99]// 00000000955C: D3F30060 1D82B9A4
	buffer_load_dword v69, s[20:23], 0 offen lds               // 000000009564: E0511000 80050045
	s_add_u32 m0, 0x400, s48                                   // 00000000956C: 807C30FF 00000400
	v_mfma_f32_16x16x32_fp8_fp8 v[96:99], a[166:167], a[94:95], v[96:99]// 000000009574: D3F30060 1D82BDA6
	v_mfma_f32_16x16x32_fp8_fp8 v[100:103], a[160:161], a[96:97], v[100:103]// 00000000957C: D3F30064 1D92C1A0
	buffer_load_dword v70, s[20:23], 0 offen lds               // 000000009584: E0511000 80050046
	s_add_u32 m0, 0x500, s48                                   // 00000000958C: 807C30FF 00000500
	v_mfma_f32_16x16x32_fp8_fp8 v[100:103], a[162:163], a[98:99], v[100:103]// 000000009594: D3F30064 1D92C5A2
	v_mfma_f32_16x16x32_fp8_fp8 v[100:103], a[164:165], a[100:101], v[100:103]// 00000000959C: D3F30064 1D92C9A4
	buffer_load_dword v71, s[20:23], 0 offen lds               // 0000000095A4: E0511000 80050047
	s_add_u32 m0, 0x600, s48                                   // 0000000095AC: 807C30FF 00000600
	v_mfma_f32_16x16x32_fp8_fp8 v[100:103], a[166:167], a[102:103], v[100:103]// 0000000095B4: D3F30064 1D92CDA6
	v_mfma_f32_16x16x32_fp8_fp8 v[104:107], a[160:161], a[104:105], v[104:107]// 0000000095BC: D3F30068 1DA2D1A0
	buffer_load_dword v72, s[20:23], 0 offen lds               // 0000000095C4: E0511000 80050048
	s_add_u32 m0, 0x700, s48                                   // 0000000095CC: 807C30FF 00000700
	v_mfma_f32_16x16x32_fp8_fp8 v[104:107], a[162:163], a[106:107], v[104:107]// 0000000095D4: D3F30068 1DA2D5A2
	v_mfma_f32_16x16x32_fp8_fp8 v[104:107], a[164:165], a[108:109], v[104:107]// 0000000095DC: D3F30068 1DA2D9A4
	buffer_load_dword v73, s[20:23], 0 offen lds               // 0000000095E4: E0511000 80050049
	s_add_u32 m0, 0x800, s48                                   // 0000000095EC: 807C30FF 00000800
	v_mfma_f32_16x16x32_fp8_fp8 v[104:107], a[166:167], a[110:111], v[104:107]// 0000000095F4: D3F30068 1DA2DDA6
	v_mfma_f32_16x16x32_fp8_fp8 v[108:111], a[160:161], a[112:113], v[108:111]// 0000000095FC: D3F3006C 1DB2E1A0
	buffer_load_dword v74, s[20:23], 0 offen lds               // 000000009604: E0511000 8005004A
	s_add_u32 m0, 0x900, s48                                   // 00000000960C: 807C30FF 00000900
	v_mfma_f32_16x16x32_fp8_fp8 v[108:111], a[162:163], a[114:115], v[108:111]// 000000009614: D3F3006C 1DB2E5A2
	v_mfma_f32_16x16x32_fp8_fp8 v[108:111], a[164:165], a[116:117], v[108:111]// 00000000961C: D3F3006C 1DB2E9A4
	buffer_load_dword v75, s[20:23], 0 offen lds               // 000000009624: E0511000 8005004B
	s_add_u32 m0, 0xa00, s48                                   // 00000000962C: 807C30FF 00000A00
	v_mfma_f32_16x16x32_fp8_fp8 v[108:111], a[166:167], a[118:119], v[108:111]// 000000009634: D3F3006C 1DB2EDA6
	v_mfma_f32_16x16x32_fp8_fp8 v[112:115], a[160:161], a[120:121], v[112:115]// 00000000963C: D3F30070 1DC2F1A0
	buffer_load_dword v76, s[20:23], 0 offen lds               // 000000009644: E0511000 8005004C
	s_add_u32 m0, 0xb00, s48                                   // 00000000964C: 807C30FF 00000B00
	v_mfma_f32_16x16x32_fp8_fp8 v[112:115], a[162:163], a[122:123], v[112:115]// 000000009654: D3F30070 1DC2F5A2
	v_mfma_f32_16x16x32_fp8_fp8 v[112:115], a[164:165], a[124:125], v[112:115]// 00000000965C: D3F30070 1DC2F9A4
	buffer_load_dword v77, s[20:23], 0 offen lds               // 000000009664: E0511000 8005004D
	s_add_u32 m0, 0xc00, s48                                   // 00000000966C: 807C30FF 00000C00
	v_mfma_f32_16x16x32_fp8_fp8 v[112:115], a[166:167], a[126:127], v[112:115]// 000000009674: D3F30070 1DC2FDA6
	v_mfma_f32_16x16x32_fp8_fp8 v[116:119], a[160:161], a[128:129], v[116:119]// 00000000967C: D3F30074 1DD301A0
	buffer_load_dword v78, s[20:23], 0 offen lds               // 000000009684: E0511000 8005004E
	s_add_u32 m0, 0xd00, s48                                   // 00000000968C: 807C30FF 00000D00
	v_mfma_f32_16x16x32_fp8_fp8 v[116:119], a[162:163], a[130:131], v[116:119]// 000000009694: D3F30074 1DD305A2
	v_mfma_f32_16x16x32_fp8_fp8 v[116:119], a[164:165], a[132:133], v[116:119]// 00000000969C: D3F30074 1DD309A4
	buffer_load_dword v79, s[20:23], 0 offen lds               // 0000000096A4: E0511000 8005004F
	s_add_u32 m0, 0xe00, s48                                   // 0000000096AC: 807C30FF 00000E00
	v_mfma_f32_16x16x32_fp8_fp8 v[116:119], a[166:167], a[134:135], v[116:119]// 0000000096B4: D3F30074 1DD30DA6
	v_mfma_f32_16x16x32_fp8_fp8 v[120:123], a[160:161], a[136:137], v[120:123]// 0000000096BC: D3F30078 1DE311A0
	buffer_load_dword v80, s[20:23], 0 offen lds               // 0000000096C4: E0511000 80050050
	s_add_u32 m0, 0xf00, s48                                   // 0000000096CC: 807C30FF 00000F00
	v_mfma_f32_16x16x32_fp8_fp8 v[120:123], a[162:163], a[138:139], v[120:123]// 0000000096D4: D3F30078 1DE315A2
	v_mfma_f32_16x16x32_fp8_fp8 v[120:123], a[164:165], a[140:141], v[120:123]// 0000000096DC: D3F30078 1DE319A4
	buffer_load_dword v81, s[20:23], 0 offen lds               // 0000000096E4: E0511000 80050051
	s_add_u32 m0, 0x1000, s48                                  // 0000000096EC: 807C30FF 00001000
	v_mfma_f32_16x16x32_fp8_fp8 v[120:123], a[166:167], a[142:143], v[120:123]// 0000000096F4: D3F30078 1DE31DA6
	buffer_load_dword v82, s[20:23], 0 offen lds               // 0000000096FC: E0511000 80050052
	s_add_u32 m0, 0x1100, s48                                  // 000000009704: 807C30FF 00001100
	buffer_load_dword v83, s[20:23], 0 offen lds               // 00000000970C: E0511000 80050053
	s_add_u32 m0, 0, s49                                       // 000000009714: 807C3180
	s_waitcnt vmcnt(20)                                        // 000000009718: BF8C4F74
	s_barrier                                                  // 00000000971C: BF8A0000
	v_mfma_f32_16x16x32_fp8_fp8 v[124:127], a[144:145], a[72:73], v[124:127]// 000000009720: D3F3007C 1DF29190
	buffer_load_dwordx4 a[160:163], v84, s[84:87], 0 offen     // 000000009728: E05C1000 8095A054
	v_mfma_f32_16x16x32_fp8_fp8 v[124:127], a[146:147], a[74:75], v[124:127]// 000000009730: D3F3007C 1DF29592
	v_mfma_f32_16x16x32_fp8_fp8 v[124:127], a[148:149], a[76:77], v[124:127]// 000000009738: D3F3007C 1DF29994
	ds_read_b128 a[0:3], v2 offset:37120                       // 000000009740: DBFE9100 00000002
	ds_read_b128 a[4:7], v2 offset:37184                       // 000000009748: DBFE9140 04000002
	v_mfma_f32_16x16x32_fp8_fp8 v[124:127], a[150:151], a[78:79], v[124:127]// 000000009750: D3F3007C 1DF29D96
	v_mfma_f32_16x16x32_fp8_fp8 v[128:131], a[144:145], a[80:81], v[128:131]// 000000009758: D3F30080 1E02A190
	buffer_load_dwordx4 a[164:167], v84, s[84:87], 0 offen offset:1024// 000000009760: E05C1400 8095A454
	v_mfma_f32_16x16x32_fp8_fp8 v[128:131], a[146:147], a[82:83], v[128:131]// 000000009768: D3F30080 1E02A592
	v_mfma_f32_16x16x32_fp8_fp8 v[128:131], a[148:149], a[84:85], v[128:131]// 000000009770: D3F30080 1E02A994
	ds_read_b128 a[8:11], v2 offset:37632                      // 000000009778: DBFE9300 08000002
	ds_read_b128 a[12:15], v2 offset:37696                     // 000000009780: DBFE9340 0C000002
	v_mfma_f32_16x16x32_fp8_fp8 v[128:131], a[150:151], a[86:87], v[128:131]// 000000009788: D3F30080 1E02AD96
	v_mfma_f32_16x16x32_fp8_fp8 v[132:135], a[144:145], a[88:89], v[132:135]// 000000009790: D3F30084 1E12B190
	v_mfma_f32_16x16x32_fp8_fp8 v[132:135], a[146:147], a[90:91], v[132:135]// 000000009798: D3F30084 1E12B592
	v_mfma_f32_16x16x32_fp8_fp8 v[132:135], a[148:149], a[92:93], v[132:135]// 0000000097A0: D3F30084 1E12B994
	ds_read_b128 a[16:19], v2 offset:38144                     // 0000000097A8: DBFE9500 10000002
	ds_read_b128 a[20:23], v2 offset:38208                     // 0000000097B0: DBFE9540 14000002
	v_mfma_f32_16x16x32_fp8_fp8 v[132:135], a[150:151], a[94:95], v[132:135]// 0000000097B8: D3F30084 1E12BD96
	v_mfma_f32_16x16x32_fp8_fp8 v[136:139], a[144:145], a[96:97], v[136:139]// 0000000097C0: D3F30088 1E22C190
	v_mfma_f32_16x16x32_fp8_fp8 v[136:139], a[146:147], a[98:99], v[136:139]// 0000000097C8: D3F30088 1E22C592
	v_mfma_f32_16x16x32_fp8_fp8 v[136:139], a[148:149], a[100:101], v[136:139]// 0000000097D0: D3F30088 1E22C994
	ds_read_b128 a[24:27], v2 offset:38656                     // 0000000097D8: DBFE9700 18000002
	ds_read_b128 a[28:31], v2 offset:38720                     // 0000000097E0: DBFE9740 1C000002
	v_mfma_f32_16x16x32_fp8_fp8 v[136:139], a[150:151], a[102:103], v[136:139]// 0000000097E8: D3F30088 1E22CD96
	v_mfma_f32_16x16x32_fp8_fp8 v[140:143], a[144:145], a[104:105], v[140:143]// 0000000097F0: D3F3008C 1E32D190
	v_mfma_f32_16x16x32_fp8_fp8 v[140:143], a[146:147], a[106:107], v[140:143]// 0000000097F8: D3F3008C 1E32D592
	v_mfma_f32_16x16x32_fp8_fp8 v[140:143], a[148:149], a[108:109], v[140:143]// 000000009800: D3F3008C 1E32D994
	ds_read_b128 a[32:35], v2 offset:39168                     // 000000009808: DBFE9900 20000002
	ds_read_b128 a[36:39], v2 offset:39232                     // 000000009810: DBFE9940 24000002
	v_mfma_f32_16x16x32_fp8_fp8 v[140:143], a[150:151], a[110:111], v[140:143]// 000000009818: D3F3008C 1E32DD96
	v_mfma_f32_16x16x32_fp8_fp8 v[144:147], a[144:145], a[112:113], v[144:147]// 000000009820: D3F30090 1E42E190
	v_mfma_f32_16x16x32_fp8_fp8 v[144:147], a[146:147], a[114:115], v[144:147]// 000000009828: D3F30090 1E42E592
	v_mfma_f32_16x16x32_fp8_fp8 v[144:147], a[148:149], a[116:117], v[144:147]// 000000009830: D3F30090 1E42E994
	ds_read_b128 a[40:43], v2 offset:39680                     // 000000009838: DBFE9B00 28000002
	ds_read_b128 a[44:47], v2 offset:39744                     // 000000009840: DBFE9B40 2C000002
	v_mfma_f32_16x16x32_fp8_fp8 v[144:147], a[150:151], a[118:119], v[144:147]// 000000009848: D3F30090 1E42ED96
	v_mfma_f32_16x16x32_fp8_fp8 v[148:151], a[144:145], a[120:121], v[148:151]// 000000009850: D3F30094 1E52F190
	v_mfma_f32_16x16x32_fp8_fp8 v[148:151], a[146:147], a[122:123], v[148:151]// 000000009858: D3F30094 1E52F592
	v_mfma_f32_16x16x32_fp8_fp8 v[148:151], a[148:149], a[124:125], v[148:151]// 000000009860: D3F30094 1E52F994
	ds_read_b128 a[48:51], v2 offset:40192                     // 000000009868: DBFE9D00 30000002
	ds_read_b128 a[52:55], v2 offset:40256                     // 000000009870: DBFE9D40 34000002
	v_mfma_f32_16x16x32_fp8_fp8 v[148:151], a[150:151], a[126:127], v[148:151]// 000000009878: D3F30094 1E52FD96
	v_mfma_f32_16x16x32_fp8_fp8 v[152:155], a[144:145], a[128:129], v[152:155]// 000000009880: D3F30098 1E630190
	s_add_u32 s60, 0x180, s80                                  // 000000009888: 803C50FF 00000180
	s_cmp_lt_u32 s60, s81                                      // 000000009890: BF0A513C
	s_cselect_b32 s57, s57, 0                                  // 000000009894: 85398039
	v_mfma_f32_16x16x32_fp8_fp8 v[152:155], a[146:147], a[130:131], v[152:155]// 000000009898: D3F30098 1E630592
	s_add_u32 s60, 0x100, s80                                  // 0000000098A0: 803C50FF 00000100
	s_cmp_lt_u32 s60, s81                                      // 0000000098A8: BF0A513C
	s_cselect_b32 s58, s58, 0                                  // 0000000098AC: 853A803A
	v_mfma_f32_16x16x32_fp8_fp8 v[152:155], a[148:149], a[132:133], v[152:155]// 0000000098B0: D3F30098 1E630994
	ds_read_b128 a[56:59], v2 offset:40704                     // 0000000098B8: DBFE9F00 38000002
	ds_read_b128 a[60:63], v2 offset:40768                     // 0000000098C0: DBFE9F40 3C000002
	s_add_u32 s60, 0x100, s80                                  // 0000000098C8: 803C50FF 00000100
	s_cmp_lt_u32 s60, s81                                      // 0000000098D0: BF0A513C
	s_cselect_b32 s83, s83, 0                                  // 0000000098D4: 85538053
	v_mfma_f32_16x16x32_fp8_fp8 v[152:155], a[150:151], a[134:135], v[152:155]// 0000000098D8: D3F30098 1E630D96
	s_add_u32 s24, s58, s24                                    // 0000000098E0: 8018183A
	s_addc_u32 s25, 0, s25                                     // 0000000098E4: 82191980
	v_mfma_f32_16x16x32_fp8_fp8 v[156:159], a[144:145], a[136:137], v[156:159]// 0000000098E8: D3F3009C 1E731190
	s_add_u32 s20, s57, s20                                    // 0000000098F0: 80141439
	s_addc_u32 s21, 0, s21                                     // 0000000098F4: 82151580
	v_mfma_f32_16x16x32_fp8_fp8 v[156:159], a[146:147], a[138:139], v[156:159]// 0000000098F8: D3F3009C 1E731592
	s_add_u32 s84, s83, s84                                    // 000000009900: 80545453
	s_addc_u32 s85, 0, s85                                     // 000000009904: 82555580
	v_mfma_f32_16x16x32_fp8_fp8 v[156:159], a[148:149], a[140:141], v[156:159]// 000000009908: D3F3009C 1E731994
	ds_read_b128 a[64:67], v2 offset:41216                     // 000000009910: DBFEA100 40000002
	ds_read_b128 a[68:71], v2 offset:41280                     // 000000009918: DBFEA140 44000002
	v_mfma_f32_16x16x32_fp8_fp8 v[156:159], a[150:151], a[142:143], v[156:159]// 000000009920: D3F3009C 1E731D96
	s_addk_i32 s80, 0x80                                       // 000000009928: B7500080
	s_cmp_lt_i32 s80, s81                                      // 00000000992C: BF045150
	s_cbranch_scc0 label_203D                                  // 000000009930: BF84046D
	s_waitcnt vmcnt(20) lgkmcnt(0)                             // 000000009934: BF8C4074
	v_mfma_f32_16x16x32_fp8_fp8 v[88:91], a[152:153], a[0:1], v[88:91]// 000000009938: D3F30058 1D620198
	buffer_load_dwordx4 a[144:147], v84, s[24:27], 0 offen     // 000000009940: E05C1000 80869054
	v_mfma_f32_16x16x32_fp8_fp8 v[88:91], a[154:155], a[2:3], v[88:91]// 000000009948: D3F30058 1D62059A
	v_mfma_f32_16x16x32_fp8_fp8 v[88:91], a[156:157], a[4:5], v[88:91]// 000000009950: D3F30058 1D62099C
	v_mfma_f32_16x16x32_fp8_fp8 v[88:91], a[158:159], a[6:7], v[88:91]// 000000009958: D3F30058 1D620D9E
	v_mfma_f32_16x16x32_fp8_fp8 v[92:95], a[152:153], a[8:9], v[92:95]// 000000009960: D3F3005C 1D721198
	buffer_load_dwordx4 a[148:151], v84, s[24:27], 0 offen offset:1024// 000000009968: E05C1400 80869454
	buffer_load_dword v66, s[20:23], 0 offen lds               // 000000009970: E0511000 80050042
	s_add_u32 m0, 0x100, s49                                   // 000000009978: 807C31FF 00000100
	v_mfma_f32_16x16x32_fp8_fp8 v[92:95], a[154:155], a[10:11], v[92:95]// 000000009980: D3F3005C 1D72159A
	v_mfma_f32_16x16x32_fp8_fp8 v[92:95], a[156:157], a[12:13], v[92:95]// 000000009988: D3F3005C 1D72199C
	buffer_load_dword v67, s[20:23], 0 offen lds               // 000000009990: E0511000 80050043
	s_add_u32 m0, 0x200, s49                                   // 000000009998: 807C31FF 00000200
	v_mfma_f32_16x16x32_fp8_fp8 v[92:95], a[158:159], a[14:15], v[92:95]// 0000000099A0: D3F3005C 1D721D9E
	v_mfma_f32_16x16x32_fp8_fp8 v[96:99], a[152:153], a[16:17], v[96:99]// 0000000099A8: D3F30060 1D822198
	buffer_load_dword v68, s[20:23], 0 offen lds               // 0000000099B0: E0511000 80050044
	s_add_u32 m0, 0x300, s49                                   // 0000000099B8: 807C31FF 00000300
	v_mfma_f32_16x16x32_fp8_fp8 v[96:99], a[154:155], a[18:19], v[96:99]// 0000000099C0: D3F30060 1D82259A
	v_mfma_f32_16x16x32_fp8_fp8 v[96:99], a[156:157], a[20:21], v[96:99]// 0000000099C8: D3F30060 1D82299C
	buffer_load_dword v69, s[20:23], 0 offen lds               // 0000000099D0: E0511000 80050045
	s_add_u32 m0, 0x400, s49                                   // 0000000099D8: 807C31FF 00000400
	v_mfma_f32_16x16x32_fp8_fp8 v[96:99], a[158:159], a[22:23], v[96:99]// 0000000099E0: D3F30060 1D822D9E
	v_mfma_f32_16x16x32_fp8_fp8 v[100:103], a[152:153], a[24:25], v[100:103]// 0000000099E8: D3F30064 1D923198
	buffer_load_dword v70, s[20:23], 0 offen lds               // 0000000099F0: E0511000 80050046
	s_add_u32 m0, 0x500, s49                                   // 0000000099F8: 807C31FF 00000500
	v_mfma_f32_16x16x32_fp8_fp8 v[100:103], a[154:155], a[26:27], v[100:103]// 000000009A00: D3F30064 1D92359A
	v_mfma_f32_16x16x32_fp8_fp8 v[100:103], a[156:157], a[28:29], v[100:103]// 000000009A08: D3F30064 1D92399C
	buffer_load_dword v71, s[20:23], 0 offen lds               // 000000009A10: E0511000 80050047
	s_add_u32 m0, 0x600, s49                                   // 000000009A18: 807C31FF 00000600
	v_mfma_f32_16x16x32_fp8_fp8 v[100:103], a[158:159], a[30:31], v[100:103]// 000000009A20: D3F30064 1D923D9E
	v_mfma_f32_16x16x32_fp8_fp8 v[104:107], a[152:153], a[32:33], v[104:107]// 000000009A28: D3F30068 1DA24198
	buffer_load_dword v72, s[20:23], 0 offen lds               // 000000009A30: E0511000 80050048
	s_add_u32 m0, 0x700, s49                                   // 000000009A38: 807C31FF 00000700
	v_mfma_f32_16x16x32_fp8_fp8 v[104:107], a[154:155], a[34:35], v[104:107]// 000000009A40: D3F30068 1DA2459A
	v_mfma_f32_16x16x32_fp8_fp8 v[104:107], a[156:157], a[36:37], v[104:107]// 000000009A48: D3F30068 1DA2499C
	buffer_load_dword v73, s[20:23], 0 offen lds               // 000000009A50: E0511000 80050049
	s_add_u32 m0, 0x800, s49                                   // 000000009A58: 807C31FF 00000800
	v_mfma_f32_16x16x32_fp8_fp8 v[104:107], a[158:159], a[38:39], v[104:107]// 000000009A60: D3F30068 1DA24D9E
	v_mfma_f32_16x16x32_fp8_fp8 v[108:111], a[152:153], a[40:41], v[108:111]// 000000009A68: D3F3006C 1DB25198
	buffer_load_dword v74, s[20:23], 0 offen lds               // 000000009A70: E0511000 8005004A
	s_add_u32 m0, 0x900, s49                                   // 000000009A78: 807C31FF 00000900
	v_mfma_f32_16x16x32_fp8_fp8 v[108:111], a[154:155], a[42:43], v[108:111]// 000000009A80: D3F3006C 1DB2559A
	v_mfma_f32_16x16x32_fp8_fp8 v[108:111], a[156:157], a[44:45], v[108:111]// 000000009A88: D3F3006C 1DB2599C
	buffer_load_dword v75, s[20:23], 0 offen lds               // 000000009A90: E0511000 8005004B
	s_add_u32 m0, 0xa00, s49                                   // 000000009A98: 807C31FF 00000A00
	v_mfma_f32_16x16x32_fp8_fp8 v[108:111], a[158:159], a[46:47], v[108:111]// 000000009AA0: D3F3006C 1DB25D9E
	v_mfma_f32_16x16x32_fp8_fp8 v[112:115], a[152:153], a[48:49], v[112:115]// 000000009AA8: D3F30070 1DC26198
	buffer_load_dword v76, s[20:23], 0 offen lds               // 000000009AB0: E0511000 8005004C
	s_add_u32 m0, 0xb00, s49                                   // 000000009AB8: 807C31FF 00000B00
	v_mfma_f32_16x16x32_fp8_fp8 v[112:115], a[154:155], a[50:51], v[112:115]// 000000009AC0: D3F30070 1DC2659A
	v_mfma_f32_16x16x32_fp8_fp8 v[112:115], a[156:157], a[52:53], v[112:115]// 000000009AC8: D3F30070 1DC2699C
	buffer_load_dword v77, s[20:23], 0 offen lds               // 000000009AD0: E0511000 8005004D
	s_add_u32 m0, 0xc00, s49                                   // 000000009AD8: 807C31FF 00000C00
	v_mfma_f32_16x16x32_fp8_fp8 v[112:115], a[158:159], a[54:55], v[112:115]// 000000009AE0: D3F30070 1DC26D9E
	v_mfma_f32_16x16x32_fp8_fp8 v[116:119], a[152:153], a[56:57], v[116:119]// 000000009AE8: D3F30074 1DD27198
	buffer_load_dword v78, s[20:23], 0 offen lds               // 000000009AF0: E0511000 8005004E
	s_add_u32 m0, 0xd00, s49                                   // 000000009AF8: 807C31FF 00000D00
	v_mfma_f32_16x16x32_fp8_fp8 v[116:119], a[154:155], a[58:59], v[116:119]// 000000009B00: D3F30074 1DD2759A
	v_mfma_f32_16x16x32_fp8_fp8 v[116:119], a[156:157], a[60:61], v[116:119]// 000000009B08: D3F30074 1DD2799C
	buffer_load_dword v79, s[20:23], 0 offen lds               // 000000009B10: E0511000 8005004F
	s_add_u32 m0, 0xe00, s49                                   // 000000009B18: 807C31FF 00000E00
	v_mfma_f32_16x16x32_fp8_fp8 v[116:119], a[158:159], a[62:63], v[116:119]// 000000009B20: D3F30074 1DD27D9E
	v_mfma_f32_16x16x32_fp8_fp8 v[120:123], a[152:153], a[64:65], v[120:123]// 000000009B28: D3F30078 1DE28198
	buffer_load_dword v80, s[20:23], 0 offen lds               // 000000009B30: E0511000 80050050
	s_add_u32 m0, 0xf00, s49                                   // 000000009B38: 807C31FF 00000F00
	v_mfma_f32_16x16x32_fp8_fp8 v[120:123], a[154:155], a[66:67], v[120:123]// 000000009B40: D3F30078 1DE2859A
	v_mfma_f32_16x16x32_fp8_fp8 v[120:123], a[156:157], a[68:69], v[120:123]// 000000009B48: D3F30078 1DE2899C
	buffer_load_dword v81, s[20:23], 0 offen lds               // 000000009B50: E0511000 80050051
	s_add_u32 m0, 0x1000, s49                                  // 000000009B58: 807C31FF 00001000
	v_mfma_f32_16x16x32_fp8_fp8 v[120:123], a[158:159], a[70:71], v[120:123]// 000000009B60: D3F30078 1DE28D9E
	buffer_load_dword v82, s[20:23], 0 offen lds               // 000000009B68: E0511000 80050052
	s_add_u32 m0, 0x1100, s49                                  // 000000009B70: 807C31FF 00001100
	buffer_load_dword v83, s[20:23], 0 offen lds               // 000000009B78: E0511000 80050053
	s_add_u32 m0, 0, s50                                       // 000000009B80: 807C3280
	s_waitcnt vmcnt(20)                                        // 000000009B84: BF8C4F74
	s_barrier                                                  // 000000009B88: BF8A0000
	v_mfma_f32_16x16x32_fp8_fp8 v[124:127], a[160:161], a[0:1], v[124:127]// 000000009B8C: D3F3007C 1DF201A0
	buffer_load_dwordx4 a[152:155], v84, s[84:87], 0 offen     // 000000009B94: E05C1000 80959854
	v_mfma_f32_16x16x32_fp8_fp8 v[124:127], a[162:163], a[2:3], v[124:127]// 000000009B9C: D3F3007C 1DF205A2
	v_mfma_f32_16x16x32_fp8_fp8 v[124:127], a[164:165], a[4:5], v[124:127]// 000000009BA4: D3F3007C 1DF209A4
	ds_read_b128 a[72:75], v2                                  // 000000009BAC: DBFE0000 48000002
	ds_read_b128 a[76:79], v2 offset:64                        // 000000009BB4: DBFE0040 4C000002
	v_mfma_f32_16x16x32_fp8_fp8 v[124:127], a[166:167], a[6:7], v[124:127]// 000000009BBC: D3F3007C 1DF20DA6
	v_mfma_f32_16x16x32_fp8_fp8 v[128:131], a[160:161], a[8:9], v[128:131]// 000000009BC4: D3F30080 1E0211A0
	buffer_load_dwordx4 a[156:159], v84, s[84:87], 0 offen offset:1024// 000000009BCC: E05C1400 80959C54
	v_mfma_f32_16x16x32_fp8_fp8 v[128:131], a[162:163], a[10:11], v[128:131]// 000000009BD4: D3F30080 1E0215A2
	v_mfma_f32_16x16x32_fp8_fp8 v[128:131], a[164:165], a[12:13], v[128:131]// 000000009BDC: D3F30080 1E0219A4
	ds_read_b128 a[80:83], v2 offset:512                       // 000000009BE4: DBFE0200 50000002
	ds_read_b128 a[84:87], v2 offset:576                       // 000000009BEC: DBFE0240 54000002
	v_mfma_f32_16x16x32_fp8_fp8 v[128:131], a[166:167], a[14:15], v[128:131]// 000000009BF4: D3F30080 1E021DA6
	v_mfma_f32_16x16x32_fp8_fp8 v[132:135], a[160:161], a[16:17], v[132:135]// 000000009BFC: D3F30084 1E1221A0
	v_mfma_f32_16x16x32_fp8_fp8 v[132:135], a[162:163], a[18:19], v[132:135]// 000000009C04: D3F30084 1E1225A2
	v_mfma_f32_16x16x32_fp8_fp8 v[132:135], a[164:165], a[20:21], v[132:135]// 000000009C0C: D3F30084 1E1229A4
	ds_read_b128 a[88:91], v2 offset:1024                      // 000000009C14: DBFE0400 58000002
	ds_read_b128 a[92:95], v2 offset:1088                      // 000000009C1C: DBFE0440 5C000002
	v_mfma_f32_16x16x32_fp8_fp8 v[132:135], a[166:167], a[22:23], v[132:135]// 000000009C24: D3F30084 1E122DA6
	v_mfma_f32_16x16x32_fp8_fp8 v[136:139], a[160:161], a[24:25], v[136:139]// 000000009C2C: D3F30088 1E2231A0
	v_mfma_f32_16x16x32_fp8_fp8 v[136:139], a[162:163], a[26:27], v[136:139]// 000000009C34: D3F30088 1E2235A2
	v_mfma_f32_16x16x32_fp8_fp8 v[136:139], a[164:165], a[28:29], v[136:139]// 000000009C3C: D3F30088 1E2239A4
	ds_read_b128 a[96:99], v2 offset:1536                      // 000000009C44: DBFE0600 60000002
	ds_read_b128 a[100:103], v2 offset:1600                    // 000000009C4C: DBFE0640 64000002
	v_mfma_f32_16x16x32_fp8_fp8 v[136:139], a[166:167], a[30:31], v[136:139]// 000000009C54: D3F30088 1E223DA6
	v_mfma_f32_16x16x32_fp8_fp8 v[140:143], a[160:161], a[32:33], v[140:143]// 000000009C5C: D3F3008C 1E3241A0
	v_mfma_f32_16x16x32_fp8_fp8 v[140:143], a[162:163], a[34:35], v[140:143]// 000000009C64: D3F3008C 1E3245A2
	v_mfma_f32_16x16x32_fp8_fp8 v[140:143], a[164:165], a[36:37], v[140:143]// 000000009C6C: D3F3008C 1E3249A4
	ds_read_b128 a[104:107], v2 offset:2048                    // 000000009C74: DBFE0800 68000002
	ds_read_b128 a[108:111], v2 offset:2112                    // 000000009C7C: DBFE0840 6C000002
	v_mfma_f32_16x16x32_fp8_fp8 v[140:143], a[166:167], a[38:39], v[140:143]// 000000009C84: D3F3008C 1E324DA6
	v_mfma_f32_16x16x32_fp8_fp8 v[144:147], a[160:161], a[40:41], v[144:147]// 000000009C8C: D3F30090 1E4251A0
	v_mfma_f32_16x16x32_fp8_fp8 v[144:147], a[162:163], a[42:43], v[144:147]// 000000009C94: D3F30090 1E4255A2
	v_mfma_f32_16x16x32_fp8_fp8 v[144:147], a[164:165], a[44:45], v[144:147]// 000000009C9C: D3F30090 1E4259A4
	ds_read_b128 a[112:115], v2 offset:2560                    // 000000009CA4: DBFE0A00 70000002
	ds_read_b128 a[116:119], v2 offset:2624                    // 000000009CAC: DBFE0A40 74000002
	v_mfma_f32_16x16x32_fp8_fp8 v[144:147], a[166:167], a[46:47], v[144:147]// 000000009CB4: D3F30090 1E425DA6
	v_mfma_f32_16x16x32_fp8_fp8 v[148:151], a[160:161], a[48:49], v[148:151]// 000000009CBC: D3F30094 1E5261A0
	v_mfma_f32_16x16x32_fp8_fp8 v[148:151], a[162:163], a[50:51], v[148:151]// 000000009CC4: D3F30094 1E5265A2
	v_mfma_f32_16x16x32_fp8_fp8 v[148:151], a[164:165], a[52:53], v[148:151]// 000000009CCC: D3F30094 1E5269A4
	ds_read_b128 a[120:123], v2 offset:3072                    // 000000009CD4: DBFE0C00 78000002
	ds_read_b128 a[124:127], v2 offset:3136                    // 000000009CDC: DBFE0C40 7C000002
	v_mfma_f32_16x16x32_fp8_fp8 v[148:151], a[166:167], a[54:55], v[148:151]// 000000009CE4: D3F30094 1E526DA6
	v_mfma_f32_16x16x32_fp8_fp8 v[152:155], a[160:161], a[56:57], v[152:155]// 000000009CEC: D3F30098 1E6271A0
	s_add_u32 s60, 0x180, s80                                  // 000000009CF4: 803C50FF 00000180
	s_cmp_lt_u32 s60, s81                                      // 000000009CFC: BF0A513C
	s_cselect_b32 s57, s57, 0                                  // 000000009D00: 85398039
	v_mfma_f32_16x16x32_fp8_fp8 v[152:155], a[162:163], a[58:59], v[152:155]// 000000009D04: D3F30098 1E6275A2
	s_add_u32 s60, 0x100, s80                                  // 000000009D0C: 803C50FF 00000100
	s_cmp_lt_u32 s60, s81                                      // 000000009D14: BF0A513C
	s_cselect_b32 s58, s58, 0                                  // 000000009D18: 853A803A
	v_mfma_f32_16x16x32_fp8_fp8 v[152:155], a[164:165], a[60:61], v[152:155]// 000000009D1C: D3F30098 1E6279A4
	ds_read_b128 a[128:131], v2 offset:3584                    // 000000009D24: DBFE0E00 80000002
	ds_read_b128 a[132:135], v2 offset:3648                    // 000000009D2C: DBFE0E40 84000002
	s_add_u32 s60, 0x100, s80                                  // 000000009D34: 803C50FF 00000100
	s_cmp_lt_u32 s60, s81                                      // 000000009D3C: BF0A513C
	s_cselect_b32 s83, s83, 0                                  // 000000009D40: 85538053
	v_mfma_f32_16x16x32_fp8_fp8 v[152:155], a[166:167], a[62:63], v[152:155]// 000000009D44: D3F30098 1E627DA6
	s_add_u32 s24, s58, s24                                    // 000000009D4C: 8018183A
	s_addc_u32 s25, 0, s25                                     // 000000009D50: 82191980
	v_mfma_f32_16x16x32_fp8_fp8 v[156:159], a[160:161], a[64:65], v[156:159]// 000000009D54: D3F3009C 1E7281A0
	s_add_u32 s20, s57, s20                                    // 000000009D5C: 80141439
	s_addc_u32 s21, 0, s21                                     // 000000009D60: 82151580
	v_mfma_f32_16x16x32_fp8_fp8 v[156:159], a[162:163], a[66:67], v[156:159]// 000000009D64: D3F3009C 1E7285A2
	s_add_u32 s84, s83, s84                                    // 000000009D6C: 80545453
	s_addc_u32 s85, 0, s85                                     // 000000009D70: 82555580
	v_mfma_f32_16x16x32_fp8_fp8 v[156:159], a[164:165], a[68:69], v[156:159]// 000000009D74: D3F3009C 1E7289A4
	ds_read_b128 a[136:139], v2 offset:4096                    // 000000009D7C: DBFE1000 88000002
	ds_read_b128 a[140:143], v2 offset:4160                    // 000000009D84: DBFE1040 8C000002
	v_mfma_f32_16x16x32_fp8_fp8 v[156:159], a[166:167], a[70:71], v[156:159]// 000000009D8C: D3F3009C 1E728DA6
	s_addk_i32 s80, 0x80                                       // 000000009D94: B7500080
	s_cmp_lt_i32 s80, s81                                      // 000000009D98: BF045150
	s_cbranch_scc0 label_203D                                  // 000000009D9C: BF840352
	s_waitcnt vmcnt(20) lgkmcnt(0)                             // 000000009DA0: BF8C4074
	v_mfma_f32_16x16x32_fp8_fp8 v[88:91], a[144:145], a[72:73], v[88:91]// 000000009DA4: D3F30058 1D629190
	buffer_load_dwordx4 a[160:163], v84, s[24:27], 0 offen     // 000000009DAC: E05C1000 8086A054
	v_mfma_f32_16x16x32_fp8_fp8 v[88:91], a[146:147], a[74:75], v[88:91]// 000000009DB4: D3F30058 1D629592
	v_mfma_f32_16x16x32_fp8_fp8 v[88:91], a[148:149], a[76:77], v[88:91]// 000000009DBC: D3F30058 1D629994
	v_mfma_f32_16x16x32_fp8_fp8 v[88:91], a[150:151], a[78:79], v[88:91]// 000000009DC4: D3F30058 1D629D96
	v_mfma_f32_16x16x32_fp8_fp8 v[92:95], a[144:145], a[80:81], v[92:95]// 000000009DCC: D3F3005C 1D72A190
	buffer_load_dwordx4 a[164:167], v84, s[24:27], 0 offen offset:1024// 000000009DD4: E05C1400 8086A454
	buffer_load_dword v66, s[20:23], 0 offen lds               // 000000009DDC: E0511000 80050042
	s_add_u32 m0, 0x100, s50                                   // 000000009DE4: 807C32FF 00000100
	v_mfma_f32_16x16x32_fp8_fp8 v[92:95], a[146:147], a[82:83], v[92:95]// 000000009DEC: D3F3005C 1D72A592
	v_mfma_f32_16x16x32_fp8_fp8 v[92:95], a[148:149], a[84:85], v[92:95]// 000000009DF4: D3F3005C 1D72A994
	buffer_load_dword v67, s[20:23], 0 offen lds               // 000000009DFC: E0511000 80050043
	s_add_u32 m0, 0x200, s50                                   // 000000009E04: 807C32FF 00000200
	v_mfma_f32_16x16x32_fp8_fp8 v[92:95], a[150:151], a[86:87], v[92:95]// 000000009E0C: D3F3005C 1D72AD96
	v_mfma_f32_16x16x32_fp8_fp8 v[96:99], a[144:145], a[88:89], v[96:99]// 000000009E14: D3F30060 1D82B190
	buffer_load_dword v68, s[20:23], 0 offen lds               // 000000009E1C: E0511000 80050044
	s_add_u32 m0, 0x300, s50                                   // 000000009E24: 807C32FF 00000300
	v_mfma_f32_16x16x32_fp8_fp8 v[96:99], a[146:147], a[90:91], v[96:99]// 000000009E2C: D3F30060 1D82B592
	v_mfma_f32_16x16x32_fp8_fp8 v[96:99], a[148:149], a[92:93], v[96:99]// 000000009E34: D3F30060 1D82B994
	buffer_load_dword v69, s[20:23], 0 offen lds               // 000000009E3C: E0511000 80050045
	s_add_u32 m0, 0x400, s50                                   // 000000009E44: 807C32FF 00000400
	v_mfma_f32_16x16x32_fp8_fp8 v[96:99], a[150:151], a[94:95], v[96:99]// 000000009E4C: D3F30060 1D82BD96
	v_mfma_f32_16x16x32_fp8_fp8 v[100:103], a[144:145], a[96:97], v[100:103]// 000000009E54: D3F30064 1D92C190
	buffer_load_dword v70, s[20:23], 0 offen lds               // 000000009E5C: E0511000 80050046
	s_add_u32 m0, 0x500, s50                                   // 000000009E64: 807C32FF 00000500
	v_mfma_f32_16x16x32_fp8_fp8 v[100:103], a[146:147], a[98:99], v[100:103]// 000000009E6C: D3F30064 1D92C592
	v_mfma_f32_16x16x32_fp8_fp8 v[100:103], a[148:149], a[100:101], v[100:103]// 000000009E74: D3F30064 1D92C994
	buffer_load_dword v71, s[20:23], 0 offen lds               // 000000009E7C: E0511000 80050047
	s_add_u32 m0, 0x600, s50                                   // 000000009E84: 807C32FF 00000600
	v_mfma_f32_16x16x32_fp8_fp8 v[100:103], a[150:151], a[102:103], v[100:103]// 000000009E8C: D3F30064 1D92CD96
	v_mfma_f32_16x16x32_fp8_fp8 v[104:107], a[144:145], a[104:105], v[104:107]// 000000009E94: D3F30068 1DA2D190
	buffer_load_dword v72, s[20:23], 0 offen lds               // 000000009E9C: E0511000 80050048
	s_add_u32 m0, 0x700, s50                                   // 000000009EA4: 807C32FF 00000700
	v_mfma_f32_16x16x32_fp8_fp8 v[104:107], a[146:147], a[106:107], v[104:107]// 000000009EAC: D3F30068 1DA2D592
	v_mfma_f32_16x16x32_fp8_fp8 v[104:107], a[148:149], a[108:109], v[104:107]// 000000009EB4: D3F30068 1DA2D994
	buffer_load_dword v73, s[20:23], 0 offen lds               // 000000009EBC: E0511000 80050049
	s_add_u32 m0, 0x800, s50                                   // 000000009EC4: 807C32FF 00000800
	v_mfma_f32_16x16x32_fp8_fp8 v[104:107], a[150:151], a[110:111], v[104:107]// 000000009ECC: D3F30068 1DA2DD96
	v_mfma_f32_16x16x32_fp8_fp8 v[108:111], a[144:145], a[112:113], v[108:111]// 000000009ED4: D3F3006C 1DB2E190
	buffer_load_dword v74, s[20:23], 0 offen lds               // 000000009EDC: E0511000 8005004A
	s_add_u32 m0, 0x900, s50                                   // 000000009EE4: 807C32FF 00000900
	v_mfma_f32_16x16x32_fp8_fp8 v[108:111], a[146:147], a[114:115], v[108:111]// 000000009EEC: D3F3006C 1DB2E592
	v_mfma_f32_16x16x32_fp8_fp8 v[108:111], a[148:149], a[116:117], v[108:111]// 000000009EF4: D3F3006C 1DB2E994
	buffer_load_dword v75, s[20:23], 0 offen lds               // 000000009EFC: E0511000 8005004B
	s_add_u32 m0, 0xa00, s50                                   // 000000009F04: 807C32FF 00000A00
	v_mfma_f32_16x16x32_fp8_fp8 v[108:111], a[150:151], a[118:119], v[108:111]// 000000009F0C: D3F3006C 1DB2ED96
	v_mfma_f32_16x16x32_fp8_fp8 v[112:115], a[144:145], a[120:121], v[112:115]// 000000009F14: D3F30070 1DC2F190
	buffer_load_dword v76, s[20:23], 0 offen lds               // 000000009F1C: E0511000 8005004C
	s_add_u32 m0, 0xb00, s50                                   // 000000009F24: 807C32FF 00000B00
	v_mfma_f32_16x16x32_fp8_fp8 v[112:115], a[146:147], a[122:123], v[112:115]// 000000009F2C: D3F30070 1DC2F592
	v_mfma_f32_16x16x32_fp8_fp8 v[112:115], a[148:149], a[124:125], v[112:115]// 000000009F34: D3F30070 1DC2F994
	buffer_load_dword v77, s[20:23], 0 offen lds               // 000000009F3C: E0511000 8005004D
	s_add_u32 m0, 0xc00, s50                                   // 000000009F44: 807C32FF 00000C00
	v_mfma_f32_16x16x32_fp8_fp8 v[112:115], a[150:151], a[126:127], v[112:115]// 000000009F4C: D3F30070 1DC2FD96
	v_mfma_f32_16x16x32_fp8_fp8 v[116:119], a[144:145], a[128:129], v[116:119]// 000000009F54: D3F30074 1DD30190
	buffer_load_dword v78, s[20:23], 0 offen lds               // 000000009F5C: E0511000 8005004E
	s_add_u32 m0, 0xd00, s50                                   // 000000009F64: 807C32FF 00000D00
	v_mfma_f32_16x16x32_fp8_fp8 v[116:119], a[146:147], a[130:131], v[116:119]// 000000009F6C: D3F30074 1DD30592
	v_mfma_f32_16x16x32_fp8_fp8 v[116:119], a[148:149], a[132:133], v[116:119]// 000000009F74: D3F30074 1DD30994
	buffer_load_dword v79, s[20:23], 0 offen lds               // 000000009F7C: E0511000 8005004F
	s_add_u32 m0, 0xe00, s50                                   // 000000009F84: 807C32FF 00000E00
	v_mfma_f32_16x16x32_fp8_fp8 v[116:119], a[150:151], a[134:135], v[116:119]// 000000009F8C: D3F30074 1DD30D96
	v_mfma_f32_16x16x32_fp8_fp8 v[120:123], a[144:145], a[136:137], v[120:123]// 000000009F94: D3F30078 1DE31190
	buffer_load_dword v80, s[20:23], 0 offen lds               // 000000009F9C: E0511000 80050050
	s_add_u32 m0, 0xf00, s50                                   // 000000009FA4: 807C32FF 00000F00
	v_mfma_f32_16x16x32_fp8_fp8 v[120:123], a[146:147], a[138:139], v[120:123]// 000000009FAC: D3F30078 1DE31592
	v_mfma_f32_16x16x32_fp8_fp8 v[120:123], a[148:149], a[140:141], v[120:123]// 000000009FB4: D3F30078 1DE31994
	buffer_load_dword v81, s[20:23], 0 offen lds               // 000000009FBC: E0511000 80050051
	s_add_u32 m0, 0x1000, s50                                  // 000000009FC4: 807C32FF 00001000
	v_mfma_f32_16x16x32_fp8_fp8 v[120:123], a[150:151], a[142:143], v[120:123]// 000000009FCC: D3F30078 1DE31D96
	buffer_load_dword v82, s[20:23], 0 offen lds               // 000000009FD4: E0511000 80050052
	s_add_u32 m0, 0x1100, s50                                  // 000000009FDC: 807C32FF 00001100
	buffer_load_dword v83, s[20:23], 0 offen lds               // 000000009FE4: E0511000 80050053
	s_add_u32 m0, 0, s48                                       // 000000009FEC: 807C3080
	s_waitcnt vmcnt(20)                                        // 000000009FF0: BF8C4F74
	s_barrier                                                  // 000000009FF4: BF8A0000
	v_mfma_f32_16x16x32_fp8_fp8 v[124:127], a[152:153], a[72:73], v[124:127]// 000000009FF8: D3F3007C 1DF29198
	buffer_load_dwordx4 a[144:147], v84, s[84:87], 0 offen     // 00000000A000: E05C1000 80959054
	v_mfma_f32_16x16x32_fp8_fp8 v[124:127], a[154:155], a[74:75], v[124:127]// 00000000A008: D3F3007C 1DF2959A
	v_mfma_f32_16x16x32_fp8_fp8 v[124:127], a[156:157], a[76:77], v[124:127]// 00000000A010: D3F3007C 1DF2999C
	ds_read_b128 a[0:3], v2 offset:18560                       // 00000000A018: DBFE4880 00000002
	ds_read_b128 a[4:7], v2 offset:18624                       // 00000000A020: DBFE48C0 04000002
	v_mfma_f32_16x16x32_fp8_fp8 v[124:127], a[158:159], a[78:79], v[124:127]// 00000000A028: D3F3007C 1DF29D9E
	v_mfma_f32_16x16x32_fp8_fp8 v[128:131], a[152:153], a[80:81], v[128:131]// 00000000A030: D3F30080 1E02A198
	buffer_load_dwordx4 a[148:151], v84, s[84:87], 0 offen offset:1024// 00000000A038: E05C1400 80959454
	v_mfma_f32_16x16x32_fp8_fp8 v[128:131], a[154:155], a[82:83], v[128:131]// 00000000A040: D3F30080 1E02A59A
	v_mfma_f32_16x16x32_fp8_fp8 v[128:131], a[156:157], a[84:85], v[128:131]// 00000000A048: D3F30080 1E02A99C
	ds_read_b128 a[8:11], v2 offset:19072                      // 00000000A050: DBFE4A80 08000002
	ds_read_b128 a[12:15], v2 offset:19136                     // 00000000A058: DBFE4AC0 0C000002
	v_mfma_f32_16x16x32_fp8_fp8 v[128:131], a[158:159], a[86:87], v[128:131]// 00000000A060: D3F30080 1E02AD9E
	v_mfma_f32_16x16x32_fp8_fp8 v[132:135], a[152:153], a[88:89], v[132:135]// 00000000A068: D3F30084 1E12B198
	v_mfma_f32_16x16x32_fp8_fp8 v[132:135], a[154:155], a[90:91], v[132:135]// 00000000A070: D3F30084 1E12B59A
	v_mfma_f32_16x16x32_fp8_fp8 v[132:135], a[156:157], a[92:93], v[132:135]// 00000000A078: D3F30084 1E12B99C
	ds_read_b128 a[16:19], v2 offset:19584                     // 00000000A080: DBFE4C80 10000002
	ds_read_b128 a[20:23], v2 offset:19648                     // 00000000A088: DBFE4CC0 14000002
	v_mfma_f32_16x16x32_fp8_fp8 v[132:135], a[158:159], a[94:95], v[132:135]// 00000000A090: D3F30084 1E12BD9E
	v_mfma_f32_16x16x32_fp8_fp8 v[136:139], a[152:153], a[96:97], v[136:139]// 00000000A098: D3F30088 1E22C198
	v_mfma_f32_16x16x32_fp8_fp8 v[136:139], a[154:155], a[98:99], v[136:139]// 00000000A0A0: D3F30088 1E22C59A
	v_mfma_f32_16x16x32_fp8_fp8 v[136:139], a[156:157], a[100:101], v[136:139]// 00000000A0A8: D3F30088 1E22C99C
	ds_read_b128 a[24:27], v2 offset:20096                     // 00000000A0B0: DBFE4E80 18000002
	ds_read_b128 a[28:31], v2 offset:20160                     // 00000000A0B8: DBFE4EC0 1C000002
	v_mfma_f32_16x16x32_fp8_fp8 v[136:139], a[158:159], a[102:103], v[136:139]// 00000000A0C0: D3F30088 1E22CD9E
	v_mfma_f32_16x16x32_fp8_fp8 v[140:143], a[152:153], a[104:105], v[140:143]// 00000000A0C8: D3F3008C 1E32D198
	v_mfma_f32_16x16x32_fp8_fp8 v[140:143], a[154:155], a[106:107], v[140:143]// 00000000A0D0: D3F3008C 1E32D59A
	v_mfma_f32_16x16x32_fp8_fp8 v[140:143], a[156:157], a[108:109], v[140:143]// 00000000A0D8: D3F3008C 1E32D99C
	ds_read_b128 a[32:35], v2 offset:20608                     // 00000000A0E0: DBFE5080 20000002
	ds_read_b128 a[36:39], v2 offset:20672                     // 00000000A0E8: DBFE50C0 24000002
	v_mfma_f32_16x16x32_fp8_fp8 v[140:143], a[158:159], a[110:111], v[140:143]// 00000000A0F0: D3F3008C 1E32DD9E
	v_mfma_f32_16x16x32_fp8_fp8 v[144:147], a[152:153], a[112:113], v[144:147]// 00000000A0F8: D3F30090 1E42E198
	v_mfma_f32_16x16x32_fp8_fp8 v[144:147], a[154:155], a[114:115], v[144:147]// 00000000A100: D3F30090 1E42E59A
	v_mfma_f32_16x16x32_fp8_fp8 v[144:147], a[156:157], a[116:117], v[144:147]// 00000000A108: D3F30090 1E42E99C
	ds_read_b128 a[40:43], v2 offset:21120                     // 00000000A110: DBFE5280 28000002
	ds_read_b128 a[44:47], v2 offset:21184                     // 00000000A118: DBFE52C0 2C000002
	v_mfma_f32_16x16x32_fp8_fp8 v[144:147], a[158:159], a[118:119], v[144:147]// 00000000A120: D3F30090 1E42ED9E
	v_mfma_f32_16x16x32_fp8_fp8 v[148:151], a[152:153], a[120:121], v[148:151]// 00000000A128: D3F30094 1E52F198
	v_mfma_f32_16x16x32_fp8_fp8 v[148:151], a[154:155], a[122:123], v[148:151]// 00000000A130: D3F30094 1E52F59A
	v_mfma_f32_16x16x32_fp8_fp8 v[148:151], a[156:157], a[124:125], v[148:151]// 00000000A138: D3F30094 1E52F99C
	ds_read_b128 a[48:51], v2 offset:21632                     // 00000000A140: DBFE5480 30000002
	ds_read_b128 a[52:55], v2 offset:21696                     // 00000000A148: DBFE54C0 34000002
	v_mfma_f32_16x16x32_fp8_fp8 v[148:151], a[158:159], a[126:127], v[148:151]// 00000000A150: D3F30094 1E52FD9E
	v_mfma_f32_16x16x32_fp8_fp8 v[152:155], a[152:153], a[128:129], v[152:155]// 00000000A158: D3F30098 1E630198
	s_add_u32 s60, 0x180, s80                                  // 00000000A160: 803C50FF 00000180
	s_cmp_lt_u32 s60, s81                                      // 00000000A168: BF0A513C
	s_cselect_b32 s57, s57, 0                                  // 00000000A16C: 85398039
	v_mfma_f32_16x16x32_fp8_fp8 v[152:155], a[154:155], a[130:131], v[152:155]// 00000000A170: D3F30098 1E63059A
	s_add_u32 s60, 0x100, s80                                  // 00000000A178: 803C50FF 00000100
	s_cmp_lt_u32 s60, s81                                      // 00000000A180: BF0A513C
	s_cselect_b32 s58, s58, 0                                  // 00000000A184: 853A803A
	v_mfma_f32_16x16x32_fp8_fp8 v[152:155], a[156:157], a[132:133], v[152:155]// 00000000A188: D3F30098 1E63099C
	ds_read_b128 a[56:59], v2 offset:22144                     // 00000000A190: DBFE5680 38000002
	ds_read_b128 a[60:63], v2 offset:22208                     // 00000000A198: DBFE56C0 3C000002
	s_add_u32 s60, 0x100, s80                                  // 00000000A1A0: 803C50FF 00000100
	s_cmp_lt_u32 s60, s81                                      // 00000000A1A8: BF0A513C
	s_cselect_b32 s83, s83, 0                                  // 00000000A1AC: 85538053
	v_mfma_f32_16x16x32_fp8_fp8 v[152:155], a[158:159], a[134:135], v[152:155]// 00000000A1B0: D3F30098 1E630D9E
	s_add_u32 s24, s58, s24                                    // 00000000A1B8: 8018183A
	s_addc_u32 s25, 0, s25                                     // 00000000A1BC: 82191980
	v_mfma_f32_16x16x32_fp8_fp8 v[156:159], a[152:153], a[136:137], v[156:159]// 00000000A1C0: D3F3009C 1E731198
	s_add_u32 s20, s57, s20                                    // 00000000A1C8: 80141439
	s_addc_u32 s21, 0, s21                                     // 00000000A1CC: 82151580
	v_mfma_f32_16x16x32_fp8_fp8 v[156:159], a[154:155], a[138:139], v[156:159]// 00000000A1D0: D3F3009C 1E73159A
	s_add_u32 s84, s83, s84                                    // 00000000A1D8: 80545453
	s_addc_u32 s85, 0, s85                                     // 00000000A1DC: 82555580
	v_mfma_f32_16x16x32_fp8_fp8 v[156:159], a[156:157], a[140:141], v[156:159]// 00000000A1E0: D3F3009C 1E73199C
	ds_read_b128 a[64:67], v2 offset:22656                     // 00000000A1E8: DBFE5880 40000002
	ds_read_b128 a[68:71], v2 offset:22720                     // 00000000A1F0: DBFE58C0 44000002
	v_mfma_f32_16x16x32_fp8_fp8 v[156:159], a[158:159], a[142:143], v[156:159]// 00000000A1F8: D3F3009C 1E731D9E
	s_addk_i32 s80, 0x80                                       // 00000000A200: B7500080
	s_cmp_lt_i32 s80, s81                                      // 00000000A204: BF045150
	s_cbranch_scc0 label_203D                                  // 00000000A208: BF840237
	s_waitcnt vmcnt(20) lgkmcnt(0)                             // 00000000A20C: BF8C4074
	v_mfma_f32_16x16x32_fp8_fp8 v[88:91], a[160:161], a[0:1], v[88:91]// 00000000A210: D3F30058 1D6201A0
	buffer_load_dwordx4 a[152:155], v84, s[24:27], 0 offen     // 00000000A218: E05C1000 80869854
	v_mfma_f32_16x16x32_fp8_fp8 v[88:91], a[162:163], a[2:3], v[88:91]// 00000000A220: D3F30058 1D6205A2
	v_mfma_f32_16x16x32_fp8_fp8 v[88:91], a[164:165], a[4:5], v[88:91]// 00000000A228: D3F30058 1D6209A4
	v_mfma_f32_16x16x32_fp8_fp8 v[88:91], a[166:167], a[6:7], v[88:91]// 00000000A230: D3F30058 1D620DA6
	v_mfma_f32_16x16x32_fp8_fp8 v[92:95], a[160:161], a[8:9], v[92:95]// 00000000A238: D3F3005C 1D7211A0
	buffer_load_dwordx4 a[156:159], v84, s[24:27], 0 offen offset:1024// 00000000A240: E05C1400 80869C54
	buffer_load_dword v66, s[20:23], 0 offen lds               // 00000000A248: E0511000 80050042
	s_add_u32 m0, 0x100, s48                                   // 00000000A250: 807C30FF 00000100
	v_mfma_f32_16x16x32_fp8_fp8 v[92:95], a[162:163], a[10:11], v[92:95]// 00000000A258: D3F3005C 1D7215A2
	v_mfma_f32_16x16x32_fp8_fp8 v[92:95], a[164:165], a[12:13], v[92:95]// 00000000A260: D3F3005C 1D7219A4
	buffer_load_dword v67, s[20:23], 0 offen lds               // 00000000A268: E0511000 80050043
	s_add_u32 m0, 0x200, s48                                   // 00000000A270: 807C30FF 00000200
	v_mfma_f32_16x16x32_fp8_fp8 v[92:95], a[166:167], a[14:15], v[92:95]// 00000000A278: D3F3005C 1D721DA6
	v_mfma_f32_16x16x32_fp8_fp8 v[96:99], a[160:161], a[16:17], v[96:99]// 00000000A280: D3F30060 1D8221A0
	buffer_load_dword v68, s[20:23], 0 offen lds               // 00000000A288: E0511000 80050044
	s_add_u32 m0, 0x300, s48                                   // 00000000A290: 807C30FF 00000300
	v_mfma_f32_16x16x32_fp8_fp8 v[96:99], a[162:163], a[18:19], v[96:99]// 00000000A298: D3F30060 1D8225A2
	v_mfma_f32_16x16x32_fp8_fp8 v[96:99], a[164:165], a[20:21], v[96:99]// 00000000A2A0: D3F30060 1D8229A4
	buffer_load_dword v69, s[20:23], 0 offen lds               // 00000000A2A8: E0511000 80050045
	s_add_u32 m0, 0x400, s48                                   // 00000000A2B0: 807C30FF 00000400
	v_mfma_f32_16x16x32_fp8_fp8 v[96:99], a[166:167], a[22:23], v[96:99]// 00000000A2B8: D3F30060 1D822DA6
	v_mfma_f32_16x16x32_fp8_fp8 v[100:103], a[160:161], a[24:25], v[100:103]// 00000000A2C0: D3F30064 1D9231A0
	buffer_load_dword v70, s[20:23], 0 offen lds               // 00000000A2C8: E0511000 80050046
	s_add_u32 m0, 0x500, s48                                   // 00000000A2D0: 807C30FF 00000500
	v_mfma_f32_16x16x32_fp8_fp8 v[100:103], a[162:163], a[26:27], v[100:103]// 00000000A2D8: D3F30064 1D9235A2
	v_mfma_f32_16x16x32_fp8_fp8 v[100:103], a[164:165], a[28:29], v[100:103]// 00000000A2E0: D3F30064 1D9239A4
	buffer_load_dword v71, s[20:23], 0 offen lds               // 00000000A2E8: E0511000 80050047
	s_add_u32 m0, 0x600, s48                                   // 00000000A2F0: 807C30FF 00000600
	v_mfma_f32_16x16x32_fp8_fp8 v[100:103], a[166:167], a[30:31], v[100:103]// 00000000A2F8: D3F30064 1D923DA6
	v_mfma_f32_16x16x32_fp8_fp8 v[104:107], a[160:161], a[32:33], v[104:107]// 00000000A300: D3F30068 1DA241A0
	buffer_load_dword v72, s[20:23], 0 offen lds               // 00000000A308: E0511000 80050048
	s_add_u32 m0, 0x700, s48                                   // 00000000A310: 807C30FF 00000700
	v_mfma_f32_16x16x32_fp8_fp8 v[104:107], a[162:163], a[34:35], v[104:107]// 00000000A318: D3F30068 1DA245A2
	v_mfma_f32_16x16x32_fp8_fp8 v[104:107], a[164:165], a[36:37], v[104:107]// 00000000A320: D3F30068 1DA249A4
	buffer_load_dword v73, s[20:23], 0 offen lds               // 00000000A328: E0511000 80050049
	s_add_u32 m0, 0x800, s48                                   // 00000000A330: 807C30FF 00000800
	v_mfma_f32_16x16x32_fp8_fp8 v[104:107], a[166:167], a[38:39], v[104:107]// 00000000A338: D3F30068 1DA24DA6
	v_mfma_f32_16x16x32_fp8_fp8 v[108:111], a[160:161], a[40:41], v[108:111]// 00000000A340: D3F3006C 1DB251A0
	buffer_load_dword v74, s[20:23], 0 offen lds               // 00000000A348: E0511000 8005004A
	s_add_u32 m0, 0x900, s48                                   // 00000000A350: 807C30FF 00000900
	v_mfma_f32_16x16x32_fp8_fp8 v[108:111], a[162:163], a[42:43], v[108:111]// 00000000A358: D3F3006C 1DB255A2
	v_mfma_f32_16x16x32_fp8_fp8 v[108:111], a[164:165], a[44:45], v[108:111]// 00000000A360: D3F3006C 1DB259A4
	buffer_load_dword v75, s[20:23], 0 offen lds               // 00000000A368: E0511000 8005004B
	s_add_u32 m0, 0xa00, s48                                   // 00000000A370: 807C30FF 00000A00
	v_mfma_f32_16x16x32_fp8_fp8 v[108:111], a[166:167], a[46:47], v[108:111]// 00000000A378: D3F3006C 1DB25DA6
	v_mfma_f32_16x16x32_fp8_fp8 v[112:115], a[160:161], a[48:49], v[112:115]// 00000000A380: D3F30070 1DC261A0
	buffer_load_dword v76, s[20:23], 0 offen lds               // 00000000A388: E0511000 8005004C
	s_add_u32 m0, 0xb00, s48                                   // 00000000A390: 807C30FF 00000B00
	v_mfma_f32_16x16x32_fp8_fp8 v[112:115], a[162:163], a[50:51], v[112:115]// 00000000A398: D3F30070 1DC265A2
	v_mfma_f32_16x16x32_fp8_fp8 v[112:115], a[164:165], a[52:53], v[112:115]// 00000000A3A0: D3F30070 1DC269A4
	buffer_load_dword v77, s[20:23], 0 offen lds               // 00000000A3A8: E0511000 8005004D
	s_add_u32 m0, 0xc00, s48                                   // 00000000A3B0: 807C30FF 00000C00
	v_mfma_f32_16x16x32_fp8_fp8 v[112:115], a[166:167], a[54:55], v[112:115]// 00000000A3B8: D3F30070 1DC26DA6
	v_mfma_f32_16x16x32_fp8_fp8 v[116:119], a[160:161], a[56:57], v[116:119]// 00000000A3C0: D3F30074 1DD271A0
	buffer_load_dword v78, s[20:23], 0 offen lds               // 00000000A3C8: E0511000 8005004E
	s_add_u32 m0, 0xd00, s48                                   // 00000000A3D0: 807C30FF 00000D00
	v_mfma_f32_16x16x32_fp8_fp8 v[116:119], a[162:163], a[58:59], v[116:119]// 00000000A3D8: D3F30074 1DD275A2
	v_mfma_f32_16x16x32_fp8_fp8 v[116:119], a[164:165], a[60:61], v[116:119]// 00000000A3E0: D3F30074 1DD279A4
	buffer_load_dword v79, s[20:23], 0 offen lds               // 00000000A3E8: E0511000 8005004F
	s_add_u32 m0, 0xe00, s48                                   // 00000000A3F0: 807C30FF 00000E00
	v_mfma_f32_16x16x32_fp8_fp8 v[116:119], a[166:167], a[62:63], v[116:119]// 00000000A3F8: D3F30074 1DD27DA6
	v_mfma_f32_16x16x32_fp8_fp8 v[120:123], a[160:161], a[64:65], v[120:123]// 00000000A400: D3F30078 1DE281A0
	buffer_load_dword v80, s[20:23], 0 offen lds               // 00000000A408: E0511000 80050050
	s_add_u32 m0, 0xf00, s48                                   // 00000000A410: 807C30FF 00000F00
	v_mfma_f32_16x16x32_fp8_fp8 v[120:123], a[162:163], a[66:67], v[120:123]// 00000000A418: D3F30078 1DE285A2
	v_mfma_f32_16x16x32_fp8_fp8 v[120:123], a[164:165], a[68:69], v[120:123]// 00000000A420: D3F30078 1DE289A4
	buffer_load_dword v81, s[20:23], 0 offen lds               // 00000000A428: E0511000 80050051
	s_add_u32 m0, 0x1000, s48                                  // 00000000A430: 807C30FF 00001000
	v_mfma_f32_16x16x32_fp8_fp8 v[120:123], a[166:167], a[70:71], v[120:123]// 00000000A438: D3F30078 1DE28DA6
	buffer_load_dword v82, s[20:23], 0 offen lds               // 00000000A440: E0511000 80050052
	s_add_u32 m0, 0x1100, s48                                  // 00000000A448: 807C30FF 00001100
	buffer_load_dword v83, s[20:23], 0 offen lds               // 00000000A450: E0511000 80050053
	s_add_u32 m0, 0, s49                                       // 00000000A458: 807C3180
	s_waitcnt vmcnt(20)                                        // 00000000A45C: BF8C4F74
	s_barrier                                                  // 00000000A460: BF8A0000
	v_mfma_f32_16x16x32_fp8_fp8 v[124:127], a[144:145], a[0:1], v[124:127]// 00000000A464: D3F3007C 1DF20190
	buffer_load_dwordx4 a[160:163], v84, s[84:87], 0 offen     // 00000000A46C: E05C1000 8095A054
	v_mfma_f32_16x16x32_fp8_fp8 v[124:127], a[146:147], a[2:3], v[124:127]// 00000000A474: D3F3007C 1DF20592
	v_mfma_f32_16x16x32_fp8_fp8 v[124:127], a[148:149], a[4:5], v[124:127]// 00000000A47C: D3F3007C 1DF20994
	ds_read_b128 a[72:75], v2 offset:37120                     // 00000000A484: DBFE9100 48000002
	ds_read_b128 a[76:79], v2 offset:37184                     // 00000000A48C: DBFE9140 4C000002
	v_mfma_f32_16x16x32_fp8_fp8 v[124:127], a[150:151], a[6:7], v[124:127]// 00000000A494: D3F3007C 1DF20D96
	v_mfma_f32_16x16x32_fp8_fp8 v[128:131], a[144:145], a[8:9], v[128:131]// 00000000A49C: D3F30080 1E021190
	buffer_load_dwordx4 a[164:167], v84, s[84:87], 0 offen offset:1024// 00000000A4A4: E05C1400 8095A454
	v_mfma_f32_16x16x32_fp8_fp8 v[128:131], a[146:147], a[10:11], v[128:131]// 00000000A4AC: D3F30080 1E021592
	v_mfma_f32_16x16x32_fp8_fp8 v[128:131], a[148:149], a[12:13], v[128:131]// 00000000A4B4: D3F30080 1E021994
	ds_read_b128 a[80:83], v2 offset:37632                     // 00000000A4BC: DBFE9300 50000002
	ds_read_b128 a[84:87], v2 offset:37696                     // 00000000A4C4: DBFE9340 54000002
	v_mfma_f32_16x16x32_fp8_fp8 v[128:131], a[150:151], a[14:15], v[128:131]// 00000000A4CC: D3F30080 1E021D96
	v_mfma_f32_16x16x32_fp8_fp8 v[132:135], a[144:145], a[16:17], v[132:135]// 00000000A4D4: D3F30084 1E122190
	v_mfma_f32_16x16x32_fp8_fp8 v[132:135], a[146:147], a[18:19], v[132:135]// 00000000A4DC: D3F30084 1E122592
	v_mfma_f32_16x16x32_fp8_fp8 v[132:135], a[148:149], a[20:21], v[132:135]// 00000000A4E4: D3F30084 1E122994
	ds_read_b128 a[88:91], v2 offset:38144                     // 00000000A4EC: DBFE9500 58000002
	ds_read_b128 a[92:95], v2 offset:38208                     // 00000000A4F4: DBFE9540 5C000002
	v_mfma_f32_16x16x32_fp8_fp8 v[132:135], a[150:151], a[22:23], v[132:135]// 00000000A4FC: D3F30084 1E122D96
	v_mfma_f32_16x16x32_fp8_fp8 v[136:139], a[144:145], a[24:25], v[136:139]// 00000000A504: D3F30088 1E223190
	v_mfma_f32_16x16x32_fp8_fp8 v[136:139], a[146:147], a[26:27], v[136:139]// 00000000A50C: D3F30088 1E223592
	v_mfma_f32_16x16x32_fp8_fp8 v[136:139], a[148:149], a[28:29], v[136:139]// 00000000A514: D3F30088 1E223994
	ds_read_b128 a[96:99], v2 offset:38656                     // 00000000A51C: DBFE9700 60000002
	ds_read_b128 a[100:103], v2 offset:38720                   // 00000000A524: DBFE9740 64000002
	v_mfma_f32_16x16x32_fp8_fp8 v[136:139], a[150:151], a[30:31], v[136:139]// 00000000A52C: D3F30088 1E223D96
	v_mfma_f32_16x16x32_fp8_fp8 v[140:143], a[144:145], a[32:33], v[140:143]// 00000000A534: D3F3008C 1E324190
	v_mfma_f32_16x16x32_fp8_fp8 v[140:143], a[146:147], a[34:35], v[140:143]// 00000000A53C: D3F3008C 1E324592
	v_mfma_f32_16x16x32_fp8_fp8 v[140:143], a[148:149], a[36:37], v[140:143]// 00000000A544: D3F3008C 1E324994
	ds_read_b128 a[104:107], v2 offset:39168                   // 00000000A54C: DBFE9900 68000002
	ds_read_b128 a[108:111], v2 offset:39232                   // 00000000A554: DBFE9940 6C000002
	v_mfma_f32_16x16x32_fp8_fp8 v[140:143], a[150:151], a[38:39], v[140:143]// 00000000A55C: D3F3008C 1E324D96
	v_mfma_f32_16x16x32_fp8_fp8 v[144:147], a[144:145], a[40:41], v[144:147]// 00000000A564: D3F30090 1E425190
	v_mfma_f32_16x16x32_fp8_fp8 v[144:147], a[146:147], a[42:43], v[144:147]// 00000000A56C: D3F30090 1E425592
	v_mfma_f32_16x16x32_fp8_fp8 v[144:147], a[148:149], a[44:45], v[144:147]// 00000000A574: D3F30090 1E425994
	ds_read_b128 a[112:115], v2 offset:39680                   // 00000000A57C: DBFE9B00 70000002
	ds_read_b128 a[116:119], v2 offset:39744                   // 00000000A584: DBFE9B40 74000002
	v_mfma_f32_16x16x32_fp8_fp8 v[144:147], a[150:151], a[46:47], v[144:147]// 00000000A58C: D3F30090 1E425D96
	v_mfma_f32_16x16x32_fp8_fp8 v[148:151], a[144:145], a[48:49], v[148:151]// 00000000A594: D3F30094 1E526190
	v_mfma_f32_16x16x32_fp8_fp8 v[148:151], a[146:147], a[50:51], v[148:151]// 00000000A59C: D3F30094 1E526592
	v_mfma_f32_16x16x32_fp8_fp8 v[148:151], a[148:149], a[52:53], v[148:151]// 00000000A5A4: D3F30094 1E526994
	ds_read_b128 a[120:123], v2 offset:40192                   // 00000000A5AC: DBFE9D00 78000002
	ds_read_b128 a[124:127], v2 offset:40256                   // 00000000A5B4: DBFE9D40 7C000002
	v_mfma_f32_16x16x32_fp8_fp8 v[148:151], a[150:151], a[54:55], v[148:151]// 00000000A5BC: D3F30094 1E526D96
	v_mfma_f32_16x16x32_fp8_fp8 v[152:155], a[144:145], a[56:57], v[152:155]// 00000000A5C4: D3F30098 1E627190
	s_add_u32 s60, 0x180, s80                                  // 00000000A5CC: 803C50FF 00000180
	s_cmp_lt_u32 s60, s81                                      // 00000000A5D4: BF0A513C
	s_cselect_b32 s57, s57, 0                                  // 00000000A5D8: 85398039
	v_mfma_f32_16x16x32_fp8_fp8 v[152:155], a[146:147], a[58:59], v[152:155]// 00000000A5DC: D3F30098 1E627592
	s_add_u32 s60, 0x100, s80                                  // 00000000A5E4: 803C50FF 00000100
	s_cmp_lt_u32 s60, s81                                      // 00000000A5EC: BF0A513C
	s_cselect_b32 s58, s58, 0                                  // 00000000A5F0: 853A803A
	v_mfma_f32_16x16x32_fp8_fp8 v[152:155], a[148:149], a[60:61], v[152:155]// 00000000A5F4: D3F30098 1E627994
	ds_read_b128 a[128:131], v2 offset:40704                   // 00000000A5FC: DBFE9F00 80000002
	ds_read_b128 a[132:135], v2 offset:40768                   // 00000000A604: DBFE9F40 84000002
	s_add_u32 s60, 0x100, s80                                  // 00000000A60C: 803C50FF 00000100
	s_cmp_lt_u32 s60, s81                                      // 00000000A614: BF0A513C
	s_cselect_b32 s83, s83, 0                                  // 00000000A618: 85538053
	v_mfma_f32_16x16x32_fp8_fp8 v[152:155], a[150:151], a[62:63], v[152:155]// 00000000A61C: D3F30098 1E627D96
	s_add_u32 s24, s58, s24                                    // 00000000A624: 8018183A
	s_addc_u32 s25, 0, s25                                     // 00000000A628: 82191980
	v_mfma_f32_16x16x32_fp8_fp8 v[156:159], a[144:145], a[64:65], v[156:159]// 00000000A62C: D3F3009C 1E728190
	s_add_u32 s20, s57, s20                                    // 00000000A634: 80141439
	s_addc_u32 s21, 0, s21                                     // 00000000A638: 82151580
	v_mfma_f32_16x16x32_fp8_fp8 v[156:159], a[146:147], a[66:67], v[156:159]// 00000000A63C: D3F3009C 1E728592
	s_add_u32 s84, s83, s84                                    // 00000000A644: 80545453
	s_addc_u32 s85, 0, s85                                     // 00000000A648: 82555580
	v_mfma_f32_16x16x32_fp8_fp8 v[156:159], a[148:149], a[68:69], v[156:159]// 00000000A64C: D3F3009C 1E728994
	ds_read_b128 a[136:139], v2 offset:41216                   // 00000000A654: DBFEA100 88000002
	ds_read_b128 a[140:143], v2 offset:41280                   // 00000000A65C: DBFEA140 8C000002
	v_mfma_f32_16x16x32_fp8_fp8 v[156:159], a[150:151], a[70:71], v[156:159]// 00000000A664: D3F3009C 1E728D96
	s_addk_i32 s80, 0x80                                       // 00000000A66C: B7500080
	s_cmp_lt_i32 s80, s81                                      // 00000000A670: BF045150
	s_cbranch_scc0 label_203D                                  // 00000000A674: BF84011C
	s_waitcnt vmcnt(20) lgkmcnt(0)                             // 00000000A678: BF8C4074
	v_mfma_f32_16x16x32_fp8_fp8 v[88:91], a[152:153], a[72:73], v[88:91]// 00000000A67C: D3F30058 1D629198
	buffer_load_dwordx4 a[144:147], v84, s[24:27], 0 offen     // 00000000A684: E05C1000 80869054
	v_mfma_f32_16x16x32_fp8_fp8 v[88:91], a[154:155], a[74:75], v[88:91]// 00000000A68C: D3F30058 1D62959A
	v_mfma_f32_16x16x32_fp8_fp8 v[88:91], a[156:157], a[76:77], v[88:91]// 00000000A694: D3F30058 1D62999C
	v_mfma_f32_16x16x32_fp8_fp8 v[88:91], a[158:159], a[78:79], v[88:91]// 00000000A69C: D3F30058 1D629D9E
	v_mfma_f32_16x16x32_fp8_fp8 v[92:95], a[152:153], a[80:81], v[92:95]// 00000000A6A4: D3F3005C 1D72A198
	buffer_load_dwordx4 a[148:151], v84, s[24:27], 0 offen offset:1024// 00000000A6AC: E05C1400 80869454
	buffer_load_dword v66, s[20:23], 0 offen lds               // 00000000A6B4: E0511000 80050042
	s_add_u32 m0, 0x100, s49                                   // 00000000A6BC: 807C31FF 00000100
	v_mfma_f32_16x16x32_fp8_fp8 v[92:95], a[154:155], a[82:83], v[92:95]// 00000000A6C4: D3F3005C 1D72A59A
	v_mfma_f32_16x16x32_fp8_fp8 v[92:95], a[156:157], a[84:85], v[92:95]// 00000000A6CC: D3F3005C 1D72A99C
	buffer_load_dword v67, s[20:23], 0 offen lds               // 00000000A6D4: E0511000 80050043
	s_add_u32 m0, 0x200, s49                                   // 00000000A6DC: 807C31FF 00000200
	v_mfma_f32_16x16x32_fp8_fp8 v[92:95], a[158:159], a[86:87], v[92:95]// 00000000A6E4: D3F3005C 1D72AD9E
	v_mfma_f32_16x16x32_fp8_fp8 v[96:99], a[152:153], a[88:89], v[96:99]// 00000000A6EC: D3F30060 1D82B198
	buffer_load_dword v68, s[20:23], 0 offen lds               // 00000000A6F4: E0511000 80050044
	s_add_u32 m0, 0x300, s49                                   // 00000000A6FC: 807C31FF 00000300
	v_mfma_f32_16x16x32_fp8_fp8 v[96:99], a[154:155], a[90:91], v[96:99]// 00000000A704: D3F30060 1D82B59A
	v_mfma_f32_16x16x32_fp8_fp8 v[96:99], a[156:157], a[92:93], v[96:99]// 00000000A70C: D3F30060 1D82B99C
	buffer_load_dword v69, s[20:23], 0 offen lds               // 00000000A714: E0511000 80050045
	s_add_u32 m0, 0x400, s49                                   // 00000000A71C: 807C31FF 00000400
	v_mfma_f32_16x16x32_fp8_fp8 v[96:99], a[158:159], a[94:95], v[96:99]// 00000000A724: D3F30060 1D82BD9E
	v_mfma_f32_16x16x32_fp8_fp8 v[100:103], a[152:153], a[96:97], v[100:103]// 00000000A72C: D3F30064 1D92C198
	buffer_load_dword v70, s[20:23], 0 offen lds               // 00000000A734: E0511000 80050046
	s_add_u32 m0, 0x500, s49                                   // 00000000A73C: 807C31FF 00000500
	v_mfma_f32_16x16x32_fp8_fp8 v[100:103], a[154:155], a[98:99], v[100:103]// 00000000A744: D3F30064 1D92C59A
	v_mfma_f32_16x16x32_fp8_fp8 v[100:103], a[156:157], a[100:101], v[100:103]// 00000000A74C: D3F30064 1D92C99C
	buffer_load_dword v71, s[20:23], 0 offen lds               // 00000000A754: E0511000 80050047
	s_add_u32 m0, 0x600, s49                                   // 00000000A75C: 807C31FF 00000600
	v_mfma_f32_16x16x32_fp8_fp8 v[100:103], a[158:159], a[102:103], v[100:103]// 00000000A764: D3F30064 1D92CD9E
	v_mfma_f32_16x16x32_fp8_fp8 v[104:107], a[152:153], a[104:105], v[104:107]// 00000000A76C: D3F30068 1DA2D198
	buffer_load_dword v72, s[20:23], 0 offen lds               // 00000000A774: E0511000 80050048
	s_add_u32 m0, 0x700, s49                                   // 00000000A77C: 807C31FF 00000700
	v_mfma_f32_16x16x32_fp8_fp8 v[104:107], a[154:155], a[106:107], v[104:107]// 00000000A784: D3F30068 1DA2D59A
	v_mfma_f32_16x16x32_fp8_fp8 v[104:107], a[156:157], a[108:109], v[104:107]// 00000000A78C: D3F30068 1DA2D99C
	buffer_load_dword v73, s[20:23], 0 offen lds               // 00000000A794: E0511000 80050049
	s_add_u32 m0, 0x800, s49                                   // 00000000A79C: 807C31FF 00000800
	v_mfma_f32_16x16x32_fp8_fp8 v[104:107], a[158:159], a[110:111], v[104:107]// 00000000A7A4: D3F30068 1DA2DD9E
	v_mfma_f32_16x16x32_fp8_fp8 v[108:111], a[152:153], a[112:113], v[108:111]// 00000000A7AC: D3F3006C 1DB2E198
	buffer_load_dword v74, s[20:23], 0 offen lds               // 00000000A7B4: E0511000 8005004A
	s_add_u32 m0, 0x900, s49                                   // 00000000A7BC: 807C31FF 00000900
	v_mfma_f32_16x16x32_fp8_fp8 v[108:111], a[154:155], a[114:115], v[108:111]// 00000000A7C4: D3F3006C 1DB2E59A
	v_mfma_f32_16x16x32_fp8_fp8 v[108:111], a[156:157], a[116:117], v[108:111]// 00000000A7CC: D3F3006C 1DB2E99C
	buffer_load_dword v75, s[20:23], 0 offen lds               // 00000000A7D4: E0511000 8005004B
	s_add_u32 m0, 0xa00, s49                                   // 00000000A7DC: 807C31FF 00000A00
	v_mfma_f32_16x16x32_fp8_fp8 v[108:111], a[158:159], a[118:119], v[108:111]// 00000000A7E4: D3F3006C 1DB2ED9E
	v_mfma_f32_16x16x32_fp8_fp8 v[112:115], a[152:153], a[120:121], v[112:115]// 00000000A7EC: D3F30070 1DC2F198
	buffer_load_dword v76, s[20:23], 0 offen lds               // 00000000A7F4: E0511000 8005004C
	s_add_u32 m0, 0xb00, s49                                   // 00000000A7FC: 807C31FF 00000B00
	v_mfma_f32_16x16x32_fp8_fp8 v[112:115], a[154:155], a[122:123], v[112:115]// 00000000A804: D3F30070 1DC2F59A
	v_mfma_f32_16x16x32_fp8_fp8 v[112:115], a[156:157], a[124:125], v[112:115]// 00000000A80C: D3F30070 1DC2F99C
	buffer_load_dword v77, s[20:23], 0 offen lds               // 00000000A814: E0511000 8005004D
	s_add_u32 m0, 0xc00, s49                                   // 00000000A81C: 807C31FF 00000C00
	v_mfma_f32_16x16x32_fp8_fp8 v[112:115], a[158:159], a[126:127], v[112:115]// 00000000A824: D3F30070 1DC2FD9E
	v_mfma_f32_16x16x32_fp8_fp8 v[116:119], a[152:153], a[128:129], v[116:119]// 00000000A82C: D3F30074 1DD30198
	buffer_load_dword v78, s[20:23], 0 offen lds               // 00000000A834: E0511000 8005004E
	s_add_u32 m0, 0xd00, s49                                   // 00000000A83C: 807C31FF 00000D00
	v_mfma_f32_16x16x32_fp8_fp8 v[116:119], a[154:155], a[130:131], v[116:119]// 00000000A844: D3F30074 1DD3059A
	v_mfma_f32_16x16x32_fp8_fp8 v[116:119], a[156:157], a[132:133], v[116:119]// 00000000A84C: D3F30074 1DD3099C
	buffer_load_dword v79, s[20:23], 0 offen lds               // 00000000A854: E0511000 8005004F
	s_add_u32 m0, 0xe00, s49                                   // 00000000A85C: 807C31FF 00000E00
	v_mfma_f32_16x16x32_fp8_fp8 v[116:119], a[158:159], a[134:135], v[116:119]// 00000000A864: D3F30074 1DD30D9E
	v_mfma_f32_16x16x32_fp8_fp8 v[120:123], a[152:153], a[136:137], v[120:123]// 00000000A86C: D3F30078 1DE31198
	buffer_load_dword v80, s[20:23], 0 offen lds               // 00000000A874: E0511000 80050050
	s_add_u32 m0, 0xf00, s49                                   // 00000000A87C: 807C31FF 00000F00
	v_mfma_f32_16x16x32_fp8_fp8 v[120:123], a[154:155], a[138:139], v[120:123]// 00000000A884: D3F30078 1DE3159A
	v_mfma_f32_16x16x32_fp8_fp8 v[120:123], a[156:157], a[140:141], v[120:123]// 00000000A88C: D3F30078 1DE3199C
	buffer_load_dword v81, s[20:23], 0 offen lds               // 00000000A894: E0511000 80050051
	s_add_u32 m0, 0x1000, s49                                  // 00000000A89C: 807C31FF 00001000
	v_mfma_f32_16x16x32_fp8_fp8 v[120:123], a[158:159], a[142:143], v[120:123]// 00000000A8A4: D3F30078 1DE31D9E
	buffer_load_dword v82, s[20:23], 0 offen lds               // 00000000A8AC: E0511000 80050052
	s_add_u32 m0, 0x1100, s49                                  // 00000000A8B4: 807C31FF 00001100
	buffer_load_dword v83, s[20:23], 0 offen lds               // 00000000A8BC: E0511000 80050053
	s_add_u32 m0, 0, s50                                       // 00000000A8C4: 807C3280
	s_waitcnt vmcnt(20)                                        // 00000000A8C8: BF8C4F74
	s_barrier                                                  // 00000000A8CC: BF8A0000
	v_mfma_f32_16x16x32_fp8_fp8 v[124:127], a[160:161], a[72:73], v[124:127]// 00000000A8D0: D3F3007C 1DF291A0
	buffer_load_dwordx4 a[152:155], v84, s[84:87], 0 offen     // 00000000A8D8: E05C1000 80959854
	v_mfma_f32_16x16x32_fp8_fp8 v[124:127], a[162:163], a[74:75], v[124:127]// 00000000A8E0: D3F3007C 1DF295A2
	v_mfma_f32_16x16x32_fp8_fp8 v[124:127], a[164:165], a[76:77], v[124:127]// 00000000A8E8: D3F3007C 1DF299A4
	ds_read_b128 a[0:3], v2                                    // 00000000A8F0: DBFE0000 00000002
	ds_read_b128 a[4:7], v2 offset:64                          // 00000000A8F8: DBFE0040 04000002
	v_mfma_f32_16x16x32_fp8_fp8 v[124:127], a[166:167], a[78:79], v[124:127]// 00000000A900: D3F3007C 1DF29DA6
	v_mfma_f32_16x16x32_fp8_fp8 v[128:131], a[160:161], a[80:81], v[128:131]// 00000000A908: D3F30080 1E02A1A0
	buffer_load_dwordx4 a[156:159], v84, s[84:87], 0 offen offset:1024// 00000000A910: E05C1400 80959C54
	v_mfma_f32_16x16x32_fp8_fp8 v[128:131], a[162:163], a[82:83], v[128:131]// 00000000A918: D3F30080 1E02A5A2
	v_mfma_f32_16x16x32_fp8_fp8 v[128:131], a[164:165], a[84:85], v[128:131]// 00000000A920: D3F30080 1E02A9A4
	ds_read_b128 a[8:11], v2 offset:512                        // 00000000A928: DBFE0200 08000002
	ds_read_b128 a[12:15], v2 offset:576                       // 00000000A930: DBFE0240 0C000002
	v_mfma_f32_16x16x32_fp8_fp8 v[128:131], a[166:167], a[86:87], v[128:131]// 00000000A938: D3F30080 1E02ADA6
	v_mfma_f32_16x16x32_fp8_fp8 v[132:135], a[160:161], a[88:89], v[132:135]// 00000000A940: D3F30084 1E12B1A0
	v_mfma_f32_16x16x32_fp8_fp8 v[132:135], a[162:163], a[90:91], v[132:135]// 00000000A948: D3F30084 1E12B5A2
	v_mfma_f32_16x16x32_fp8_fp8 v[132:135], a[164:165], a[92:93], v[132:135]// 00000000A950: D3F30084 1E12B9A4
	ds_read_b128 a[16:19], v2 offset:1024                      // 00000000A958: DBFE0400 10000002
	ds_read_b128 a[20:23], v2 offset:1088                      // 00000000A960: DBFE0440 14000002
	v_mfma_f32_16x16x32_fp8_fp8 v[132:135], a[166:167], a[94:95], v[132:135]// 00000000A968: D3F30084 1E12BDA6
	v_mfma_f32_16x16x32_fp8_fp8 v[136:139], a[160:161], a[96:97], v[136:139]// 00000000A970: D3F30088 1E22C1A0
	v_mfma_f32_16x16x32_fp8_fp8 v[136:139], a[162:163], a[98:99], v[136:139]// 00000000A978: D3F30088 1E22C5A2
	v_mfma_f32_16x16x32_fp8_fp8 v[136:139], a[164:165], a[100:101], v[136:139]// 00000000A980: D3F30088 1E22C9A4
	ds_read_b128 a[24:27], v2 offset:1536                      // 00000000A988: DBFE0600 18000002
	ds_read_b128 a[28:31], v2 offset:1600                      // 00000000A990: DBFE0640 1C000002
	v_mfma_f32_16x16x32_fp8_fp8 v[136:139], a[166:167], a[102:103], v[136:139]// 00000000A998: D3F30088 1E22CDA6
	v_mfma_f32_16x16x32_fp8_fp8 v[140:143], a[160:161], a[104:105], v[140:143]// 00000000A9A0: D3F3008C 1E32D1A0
	v_mfma_f32_16x16x32_fp8_fp8 v[140:143], a[162:163], a[106:107], v[140:143]// 00000000A9A8: D3F3008C 1E32D5A2
	v_mfma_f32_16x16x32_fp8_fp8 v[140:143], a[164:165], a[108:109], v[140:143]// 00000000A9B0: D3F3008C 1E32D9A4
	ds_read_b128 a[32:35], v2 offset:2048                      // 00000000A9B8: DBFE0800 20000002
	ds_read_b128 a[36:39], v2 offset:2112                      // 00000000A9C0: DBFE0840 24000002
	v_mfma_f32_16x16x32_fp8_fp8 v[140:143], a[166:167], a[110:111], v[140:143]// 00000000A9C8: D3F3008C 1E32DDA6
	v_mfma_f32_16x16x32_fp8_fp8 v[144:147], a[160:161], a[112:113], v[144:147]// 00000000A9D0: D3F30090 1E42E1A0
	v_mfma_f32_16x16x32_fp8_fp8 v[144:147], a[162:163], a[114:115], v[144:147]// 00000000A9D8: D3F30090 1E42E5A2
	v_mfma_f32_16x16x32_fp8_fp8 v[144:147], a[164:165], a[116:117], v[144:147]// 00000000A9E0: D3F30090 1E42E9A4
	ds_read_b128 a[40:43], v2 offset:2560                      // 00000000A9E8: DBFE0A00 28000002
	ds_read_b128 a[44:47], v2 offset:2624                      // 00000000A9F0: DBFE0A40 2C000002
	v_mfma_f32_16x16x32_fp8_fp8 v[144:147], a[166:167], a[118:119], v[144:147]// 00000000A9F8: D3F30090 1E42EDA6
	v_mfma_f32_16x16x32_fp8_fp8 v[148:151], a[160:161], a[120:121], v[148:151]// 00000000AA00: D3F30094 1E52F1A0
	v_mfma_f32_16x16x32_fp8_fp8 v[148:151], a[162:163], a[122:123], v[148:151]// 00000000AA08: D3F30094 1E52F5A2
	v_mfma_f32_16x16x32_fp8_fp8 v[148:151], a[164:165], a[124:125], v[148:151]// 00000000AA10: D3F30094 1E52F9A4
	ds_read_b128 a[48:51], v2 offset:3072                      // 00000000AA18: DBFE0C00 30000002
	ds_read_b128 a[52:55], v2 offset:3136                      // 00000000AA20: DBFE0C40 34000002
	v_mfma_f32_16x16x32_fp8_fp8 v[148:151], a[166:167], a[126:127], v[148:151]// 00000000AA28: D3F30094 1E52FDA6
	v_mfma_f32_16x16x32_fp8_fp8 v[152:155], a[160:161], a[128:129], v[152:155]// 00000000AA30: D3F30098 1E6301A0
	s_add_u32 s60, 0x180, s80                                  // 00000000AA38: 803C50FF 00000180
	s_cmp_lt_u32 s60, s81                                      // 00000000AA40: BF0A513C
	s_cselect_b32 s57, s57, 0                                  // 00000000AA44: 85398039
	v_mfma_f32_16x16x32_fp8_fp8 v[152:155], a[162:163], a[130:131], v[152:155]// 00000000AA48: D3F30098 1E6305A2
	s_add_u32 s60, 0x100, s80                                  // 00000000AA50: 803C50FF 00000100
	s_cmp_lt_u32 s60, s81                                      // 00000000AA58: BF0A513C
	s_cselect_b32 s58, s58, 0                                  // 00000000AA5C: 853A803A
	v_mfma_f32_16x16x32_fp8_fp8 v[152:155], a[164:165], a[132:133], v[152:155]// 00000000AA60: D3F30098 1E6309A4
	ds_read_b128 a[56:59], v2 offset:3584                      // 00000000AA68: DBFE0E00 38000002
	ds_read_b128 a[60:63], v2 offset:3648                      // 00000000AA70: DBFE0E40 3C000002
	s_add_u32 s60, 0x100, s80                                  // 00000000AA78: 803C50FF 00000100
	s_cmp_lt_u32 s60, s81                                      // 00000000AA80: BF0A513C
	s_cselect_b32 s83, s83, 0                                  // 00000000AA84: 85538053
	v_mfma_f32_16x16x32_fp8_fp8 v[152:155], a[166:167], a[134:135], v[152:155]// 00000000AA88: D3F30098 1E630DA6
	s_add_u32 s24, s58, s24                                    // 00000000AA90: 8018183A
	s_addc_u32 s25, 0, s25                                     // 00000000AA94: 82191980
	v_mfma_f32_16x16x32_fp8_fp8 v[156:159], a[160:161], a[136:137], v[156:159]// 00000000AA98: D3F3009C 1E7311A0
	s_add_u32 s20, s57, s20                                    // 00000000AAA0: 80141439
	s_addc_u32 s21, 0, s21                                     // 00000000AAA4: 82151580
	v_mfma_f32_16x16x32_fp8_fp8 v[156:159], a[162:163], a[138:139], v[156:159]// 00000000AAA8: D3F3009C 1E7315A2
	s_add_u32 s84, s83, s84                                    // 00000000AAB0: 80545453
	s_addc_u32 s85, 0, s85                                     // 00000000AAB4: 82555580
	v_mfma_f32_16x16x32_fp8_fp8 v[156:159], a[164:165], a[140:141], v[156:159]// 00000000AAB8: D3F3009C 1E7319A4
	ds_read_b128 a[64:67], v2 offset:4096                      // 00000000AAC0: DBFE1000 40000002
	ds_read_b128 a[68:71], v2 offset:4160                      // 00000000AAC8: DBFE1040 44000002
	v_mfma_f32_16x16x32_fp8_fp8 v[156:159], a[166:167], a[142:143], v[156:159]// 00000000AAD0: D3F3009C 1E731DA6
	s_addk_i32 s80, 0x80                                       // 00000000AAD8: B7500080
	s_cmp_lt_i32 s80, s81                                      // 00000000AADC: BF045150
	s_cbranch_scc0 label_203D                                  // 00000000AAE0: BF840001
	s_branch label_199A                                        // 00000000AAE4: BF82F95D

000000000000aae8 <label_203D>:
	v_mul_f32_dpp v88, v24, v88 row_newbcast:0 row_mask:0xf bank_mask:0xf// 00000000AAE8: 0AB0B0FA FF015018
	v_mul_f32_dpp v89, v24, v89 row_newbcast:1 row_mask:0xf bank_mask:0xf// 00000000AAF0: 0AB2B2FA FF015118
	v_mul_f32_dpp v90, v24, v90 row_newbcast:2 row_mask:0xf bank_mask:0xf// 00000000AAF8: 0AB4B4FA FF015218
	v_mul_f32_dpp v91, v24, v91 row_newbcast:3 row_mask:0xf bank_mask:0xf// 00000000AB00: 0AB6B6FA FF015318
	v_mul_f32_dpp v92, v24, v92 row_newbcast:0 row_mask:0xf bank_mask:0xf// 00000000AB08: 0AB8B8FA FF015018
	v_mul_f32_dpp v93, v24, v93 row_newbcast:1 row_mask:0xf bank_mask:0xf// 00000000AB10: 0ABABAFA FF015118
	v_mul_f32_dpp v94, v24, v94 row_newbcast:2 row_mask:0xf bank_mask:0xf// 00000000AB18: 0ABCBCFA FF015218
	v_mul_f32_dpp v95, v24, v95 row_newbcast:3 row_mask:0xf bank_mask:0xf// 00000000AB20: 0ABEBEFA FF015318
	v_mul_f32_dpp v96, v24, v96 row_newbcast:0 row_mask:0xf bank_mask:0xf// 00000000AB28: 0AC0C0FA FF015018
	v_mul_f32_dpp v97, v24, v97 row_newbcast:1 row_mask:0xf bank_mask:0xf// 00000000AB30: 0AC2C2FA FF015118
	v_mul_f32_dpp v98, v24, v98 row_newbcast:2 row_mask:0xf bank_mask:0xf// 00000000AB38: 0AC4C4FA FF015218
	v_mul_f32_dpp v99, v24, v99 row_newbcast:3 row_mask:0xf bank_mask:0xf// 00000000AB40: 0AC6C6FA FF015318
	v_mul_f32_dpp v100, v24, v100 row_newbcast:0 row_mask:0xf bank_mask:0xf// 00000000AB48: 0AC8C8FA FF015018
	v_mul_f32_dpp v101, v24, v101 row_newbcast:1 row_mask:0xf bank_mask:0xf// 00000000AB50: 0ACACAFA FF015118
	v_mul_f32_dpp v102, v24, v102 row_newbcast:2 row_mask:0xf bank_mask:0xf// 00000000AB58: 0ACCCCFA FF015218
	v_mul_f32_dpp v103, v24, v103 row_newbcast:3 row_mask:0xf bank_mask:0xf// 00000000AB60: 0ACECEFA FF015318
	v_mul_f32_dpp v104, v24, v104 row_newbcast:0 row_mask:0xf bank_mask:0xf// 00000000AB68: 0AD0D0FA FF015018
	v_mul_f32_dpp v105, v24, v105 row_newbcast:1 row_mask:0xf bank_mask:0xf// 00000000AB70: 0AD2D2FA FF015118
	v_mul_f32_dpp v106, v24, v106 row_newbcast:2 row_mask:0xf bank_mask:0xf// 00000000AB78: 0AD4D4FA FF015218
	v_mul_f32_dpp v107, v24, v107 row_newbcast:3 row_mask:0xf bank_mask:0xf// 00000000AB80: 0AD6D6FA FF015318
	v_mul_f32_dpp v108, v24, v108 row_newbcast:0 row_mask:0xf bank_mask:0xf// 00000000AB88: 0AD8D8FA FF015018
	v_mul_f32_dpp v109, v24, v109 row_newbcast:1 row_mask:0xf bank_mask:0xf// 00000000AB90: 0ADADAFA FF015118
	v_mul_f32_dpp v110, v24, v110 row_newbcast:2 row_mask:0xf bank_mask:0xf// 00000000AB98: 0ADCDCFA FF015218
	v_mul_f32_dpp v111, v24, v111 row_newbcast:3 row_mask:0xf bank_mask:0xf// 00000000ABA0: 0ADEDEFA FF015318
	v_mul_f32_dpp v112, v24, v112 row_newbcast:0 row_mask:0xf bank_mask:0xf// 00000000ABA8: 0AE0E0FA FF015018
	v_mul_f32_dpp v113, v24, v113 row_newbcast:1 row_mask:0xf bank_mask:0xf// 00000000ABB0: 0AE2E2FA FF015118
	v_mul_f32_dpp v114, v24, v114 row_newbcast:2 row_mask:0xf bank_mask:0xf// 00000000ABB8: 0AE4E4FA FF015218
	v_mul_f32_dpp v115, v24, v115 row_newbcast:3 row_mask:0xf bank_mask:0xf// 00000000ABC0: 0AE6E6FA FF015318
	v_mul_f32_dpp v116, v24, v116 row_newbcast:0 row_mask:0xf bank_mask:0xf// 00000000ABC8: 0AE8E8FA FF015018
	v_mul_f32_dpp v117, v24, v117 row_newbcast:1 row_mask:0xf bank_mask:0xf// 00000000ABD0: 0AEAEAFA FF015118
	v_mul_f32_dpp v118, v24, v118 row_newbcast:2 row_mask:0xf bank_mask:0xf// 00000000ABD8: 0AECECFA FF015218
	v_mul_f32_dpp v119, v24, v119 row_newbcast:3 row_mask:0xf bank_mask:0xf// 00000000ABE0: 0AEEEEFA FF015318
	v_mul_f32_dpp v120, v24, v120 row_newbcast:0 row_mask:0xf bank_mask:0xf// 00000000ABE8: 0AF0F0FA FF015018
	v_mul_f32_dpp v121, v24, v121 row_newbcast:1 row_mask:0xf bank_mask:0xf// 00000000ABF0: 0AF2F2FA FF015118
	v_mul_f32_dpp v122, v24, v122 row_newbcast:2 row_mask:0xf bank_mask:0xf// 00000000ABF8: 0AF4F4FA FF015218
	v_mul_f32_dpp v123, v24, v123 row_newbcast:3 row_mask:0xf bank_mask:0xf// 00000000AC00: 0AF6F6FA FF015318
	v_mul_f32_dpp v124, v27, v124 row_newbcast:0 row_mask:0xf bank_mask:0xf// 00000000AC08: 0AF8F8FA FF01501B
	v_mul_f32_dpp v125, v27, v125 row_newbcast:1 row_mask:0xf bank_mask:0xf// 00000000AC10: 0AFAFAFA FF01511B
	v_mul_f32_dpp v126, v27, v126 row_newbcast:2 row_mask:0xf bank_mask:0xf// 00000000AC18: 0AFCFCFA FF01521B
	v_mul_f32_dpp v127, v27, v127 row_newbcast:3 row_mask:0xf bank_mask:0xf// 00000000AC20: 0AFEFEFA FF01531B
	v_mul_f32_dpp v128, v27, v128 row_newbcast:0 row_mask:0xf bank_mask:0xf// 00000000AC28: 0B0100FA FF01501B
	v_mul_f32_dpp v129, v27, v129 row_newbcast:1 row_mask:0xf bank_mask:0xf// 00000000AC30: 0B0302FA FF01511B
	v_mul_f32_dpp v130, v27, v130 row_newbcast:2 row_mask:0xf bank_mask:0xf// 00000000AC38: 0B0504FA FF01521B
	v_mul_f32_dpp v131, v27, v131 row_newbcast:3 row_mask:0xf bank_mask:0xf// 00000000AC40: 0B0706FA FF01531B
	v_mul_f32_dpp v132, v27, v132 row_newbcast:0 row_mask:0xf bank_mask:0xf// 00000000AC48: 0B0908FA FF01501B
	v_mul_f32_dpp v133, v27, v133 row_newbcast:1 row_mask:0xf bank_mask:0xf// 00000000AC50: 0B0B0AFA FF01511B
	v_mul_f32_dpp v134, v27, v134 row_newbcast:2 row_mask:0xf bank_mask:0xf// 00000000AC58: 0B0D0CFA FF01521B
	v_mul_f32_dpp v135, v27, v135 row_newbcast:3 row_mask:0xf bank_mask:0xf// 00000000AC60: 0B0F0EFA FF01531B
	v_mul_f32_dpp v136, v27, v136 row_newbcast:0 row_mask:0xf bank_mask:0xf// 00000000AC68: 0B1110FA FF01501B
	v_mul_f32_dpp v137, v27, v137 row_newbcast:1 row_mask:0xf bank_mask:0xf// 00000000AC70: 0B1312FA FF01511B
	v_mul_f32_dpp v138, v27, v138 row_newbcast:2 row_mask:0xf bank_mask:0xf// 00000000AC78: 0B1514FA FF01521B
	v_mul_f32_dpp v139, v27, v139 row_newbcast:3 row_mask:0xf bank_mask:0xf// 00000000AC80: 0B1716FA FF01531B
	v_mul_f32_dpp v140, v27, v140 row_newbcast:0 row_mask:0xf bank_mask:0xf// 00000000AC88: 0B1918FA FF01501B
	v_mul_f32_dpp v141, v27, v141 row_newbcast:1 row_mask:0xf bank_mask:0xf// 00000000AC90: 0B1B1AFA FF01511B
	v_mul_f32_dpp v142, v27, v142 row_newbcast:2 row_mask:0xf bank_mask:0xf// 00000000AC98: 0B1D1CFA FF01521B
	v_mul_f32_dpp v143, v27, v143 row_newbcast:3 row_mask:0xf bank_mask:0xf// 00000000ACA0: 0B1F1EFA FF01531B
	v_mul_f32_dpp v144, v27, v144 row_newbcast:0 row_mask:0xf bank_mask:0xf// 00000000ACA8: 0B2120FA FF01501B
	v_mul_f32_dpp v145, v27, v145 row_newbcast:1 row_mask:0xf bank_mask:0xf// 00000000ACB0: 0B2322FA FF01511B
	v_mul_f32_dpp v146, v27, v146 row_newbcast:2 row_mask:0xf bank_mask:0xf// 00000000ACB8: 0B2524FA FF01521B
	v_mul_f32_dpp v147, v27, v147 row_newbcast:3 row_mask:0xf bank_mask:0xf// 00000000ACC0: 0B2726FA FF01531B
	v_mul_f32_dpp v148, v27, v148 row_newbcast:0 row_mask:0xf bank_mask:0xf// 00000000ACC8: 0B2928FA FF01501B
	v_mul_f32_dpp v149, v27, v149 row_newbcast:1 row_mask:0xf bank_mask:0xf// 00000000ACD0: 0B2B2AFA FF01511B
	v_mul_f32_dpp v150, v27, v150 row_newbcast:2 row_mask:0xf bank_mask:0xf// 00000000ACD8: 0B2D2CFA FF01521B
	v_mul_f32_dpp v151, v27, v151 row_newbcast:3 row_mask:0xf bank_mask:0xf// 00000000ACE0: 0B2F2EFA FF01531B
	v_mul_f32_dpp v152, v27, v152 row_newbcast:0 row_mask:0xf bank_mask:0xf// 00000000ACE8: 0B3130FA FF01501B
	v_mul_f32_dpp v153, v27, v153 row_newbcast:1 row_mask:0xf bank_mask:0xf// 00000000ACF0: 0B3332FA FF01511B
	v_mul_f32_dpp v154, v27, v154 row_newbcast:2 row_mask:0xf bank_mask:0xf// 00000000ACF8: 0B3534FA FF01521B
	v_mul_f32_dpp v155, v27, v155 row_newbcast:3 row_mask:0xf bank_mask:0xf// 00000000AD00: 0B3736FA FF01531B
	v_mul_f32_dpp v156, v27, v156 row_newbcast:0 row_mask:0xf bank_mask:0xf// 00000000AD08: 0B3938FA FF01501B
	v_mul_f32_dpp v157, v27, v157 row_newbcast:1 row_mask:0xf bank_mask:0xf// 00000000AD10: 0B3B3AFA FF01511B
	v_mul_f32_dpp v158, v27, v158 row_newbcast:2 row_mask:0xf bank_mask:0xf// 00000000AD18: 0B3D3CFA FF01521B
	v_mul_f32_dpp v159, v27, v159 row_newbcast:3 row_mask:0xf bank_mask:0xf// 00000000AD20: 0B3F3EFA FF01531B
	v_mul_f32_e32 v39, v39, v160                               // 00000000AD28: 0A4F4127
	v_mov_b32_e32 v4, v39                                      // 00000000AD2C: 7E080327
	v_mov_b32_e32 v5, v4                                       // 00000000AD30: 7E0A0304
	v_pk_mul_f32 v[88:89], v[4:5], v[88:89]                    // 00000000AD34: D3B14058 1802B104
	v_pk_mul_f32 v[124:125], v[4:5], v[124:125]                // 00000000AD3C: D3B1407C 1802F904
	v_pk_mul_f32 v[90:91], v[4:5], v[90:91]                    // 00000000AD44: D3B1405A 1802B504
	v_pk_mul_f32 v[126:127], v[4:5], v[126:127]                // 00000000AD4C: D3B1407E 1802FD04
	v_mul_f32_e32 v40, v40, v161                               // 00000000AD54: 0A514328
	v_mov_b32_e32 v4, v40                                      // 00000000AD58: 7E080328
	v_mov_b32_e32 v5, v4                                       // 00000000AD5C: 7E0A0304
	v_pk_mul_f32 v[92:93], v[4:5], v[92:93]                    // 00000000AD60: D3B1405C 1802B904
	v_pk_mul_f32 v[128:129], v[4:5], v[128:129]                // 00000000AD68: D3B14080 18030104
	v_pk_mul_f32 v[94:95], v[4:5], v[94:95]                    // 00000000AD70: D3B1405E 1802BD04
	v_pk_mul_f32 v[130:131], v[4:5], v[130:131]                // 00000000AD78: D3B14082 18030504
	v_mul_f32_e32 v41, v41, v162                               // 00000000AD80: 0A534529
	v_mov_b32_e32 v4, v41                                      // 00000000AD84: 7E080329
	v_mov_b32_e32 v5, v4                                       // 00000000AD88: 7E0A0304
	v_pk_mul_f32 v[96:97], v[4:5], v[96:97]                    // 00000000AD8C: D3B14060 1802C104
	v_pk_mul_f32 v[132:133], v[4:5], v[132:133]                // 00000000AD94: D3B14084 18030904
	v_pk_mul_f32 v[98:99], v[4:5], v[98:99]                    // 00000000AD9C: D3B14062 1802C504
	v_pk_mul_f32 v[134:135], v[4:5], v[134:135]                // 00000000ADA4: D3B14086 18030D04
	v_mul_f32_e32 v42, v42, v163                               // 00000000ADAC: 0A55472A
	v_mov_b32_e32 v4, v42                                      // 00000000ADB0: 7E08032A
	v_mov_b32_e32 v5, v4                                       // 00000000ADB4: 7E0A0304
	v_pk_mul_f32 v[100:101], v[4:5], v[100:101]                // 00000000ADB8: D3B14064 1802C904
	v_pk_mul_f32 v[136:137], v[4:5], v[136:137]                // 00000000ADC0: D3B14088 18031104
	v_pk_mul_f32 v[102:103], v[4:5], v[102:103]                // 00000000ADC8: D3B14066 1802CD04
	v_pk_mul_f32 v[138:139], v[4:5], v[138:139]                // 00000000ADD0: D3B1408A 18031504
	v_mul_f32_e32 v43, v43, v164                               // 00000000ADD8: 0A57492B
	v_mov_b32_e32 v4, v43                                      // 00000000ADDC: 7E08032B
	v_mov_b32_e32 v5, v4                                       // 00000000ADE0: 7E0A0304
	v_pk_mul_f32 v[104:105], v[4:5], v[104:105]                // 00000000ADE4: D3B14068 1802D104
	v_pk_mul_f32 v[140:141], v[4:5], v[140:141]                // 00000000ADEC: D3B1408C 18031904
	v_pk_mul_f32 v[106:107], v[4:5], v[106:107]                // 00000000ADF4: D3B1406A 1802D504
	v_pk_mul_f32 v[142:143], v[4:5], v[142:143]                // 00000000ADFC: D3B1408E 18031D04
	v_mul_f32_e32 v44, v44, v165                               // 00000000AE04: 0A594B2C
	v_mov_b32_e32 v4, v44                                      // 00000000AE08: 7E08032C
	v_mov_b32_e32 v5, v4                                       // 00000000AE0C: 7E0A0304
	v_pk_mul_f32 v[108:109], v[4:5], v[108:109]                // 00000000AE10: D3B1406C 1802D904
	v_pk_mul_f32 v[144:145], v[4:5], v[144:145]                // 00000000AE18: D3B14090 18032104
	v_pk_mul_f32 v[110:111], v[4:5], v[110:111]                // 00000000AE20: D3B1406E 1802DD04
	v_pk_mul_f32 v[146:147], v[4:5], v[146:147]                // 00000000AE28: D3B14092 18032504
	v_mul_f32_e32 v45, v45, v166                               // 00000000AE30: 0A5B4D2D
	v_mov_b32_e32 v4, v45                                      // 00000000AE34: 7E08032D
	v_mov_b32_e32 v5, v4                                       // 00000000AE38: 7E0A0304
	v_pk_mul_f32 v[112:113], v[4:5], v[112:113]                // 00000000AE3C: D3B14070 1802E104
	v_pk_mul_f32 v[148:149], v[4:5], v[148:149]                // 00000000AE44: D3B14094 18032904
	v_pk_mul_f32 v[114:115], v[4:5], v[114:115]                // 00000000AE4C: D3B14072 1802E504
	v_pk_mul_f32 v[150:151], v[4:5], v[150:151]                // 00000000AE54: D3B14096 18032D04
	v_mul_f32_e32 v46, v46, v167                               // 00000000AE5C: 0A5D4F2E
	v_mov_b32_e32 v4, v46                                      // 00000000AE60: 7E08032E
	v_mov_b32_e32 v5, v4                                       // 00000000AE64: 7E0A0304
	v_pk_mul_f32 v[116:117], v[4:5], v[116:117]                // 00000000AE68: D3B14074 1802E904
	v_pk_mul_f32 v[152:153], v[4:5], v[152:153]                // 00000000AE70: D3B14098 18033104
	v_pk_mul_f32 v[118:119], v[4:5], v[118:119]                // 00000000AE78: D3B14076 1802ED04
	v_pk_mul_f32 v[154:155], v[4:5], v[154:155]                // 00000000AE80: D3B1409A 18033504
	v_mul_f32_e32 v47, v47, v168                               // 00000000AE88: 0A5F512F
	v_mov_b32_e32 v4, v47                                      // 00000000AE8C: 7E08032F
	v_mov_b32_e32 v5, v4                                       // 00000000AE90: 7E0A0304
	v_pk_mul_f32 v[120:121], v[4:5], v[120:121]                // 00000000AE94: D3B14078 1802F104
	v_pk_mul_f32 v[156:157], v[4:5], v[156:157]                // 00000000AE9C: D3B1409C 18033904
	v_pk_mul_f32 v[122:123], v[4:5], v[122:123]                // 00000000AEA4: D3B1407A 1802F504
	v_pk_mul_f32 v[158:159], v[4:5], v[158:159]                // 00000000AEAC: D3B1409E 18033D04
	s_cmp_eq_u32 s88, 0                                        // 00000000AEB4: BF068058
	s_cbranch_scc0 label_27DD                                  // 00000000AEB8: BF8406AB
	s_cmp_eq_u32 s89, 0                                        // 00000000AEBC: BF068059
	s_cbranch_scc1 label_22A1                                  // 00000000AEC0: BF85016D
	v_mov_b32_e32 v8, v1                                       // 00000000AEC4: 7E100301
	v_mov_b32_e32 v9, v1                                       // 00000000AEC8: 7E120301
	s_mov_b32 s60, s6                                          // 00000000AECC: BEBC0006
	s_mov_b32 s61, s6                                          // 00000000AED0: BEBD0006
	v_pk_mul_f32 v[4:5], v[88:89], v[88:89]                    // 00000000AED4: D3B14004 1802B158
	v_pk_mul_f32 v[6:7], v[90:91], v[90:91]                    // 00000000AEDC: D3B14006 1802B55A
	v_pk_fma_f32 v[4:5], v[4:5], s[78:79], v[8:9]              // 00000000AEE4: D3B04004 1C209D04
	v_pk_fma_f32 v[6:7], v[6:7], s[78:79], v[8:9]              // 00000000AEEC: D3B04006 1C209D06
	v_pk_mul_f32 v[4:5], v[4:5], v[88:89]                      // 00000000AEF4: D3B14004 1802B104
	v_pk_mul_f32 v[6:7], v[6:7], v[90:91]                      // 00000000AEFC: D3B14006 1802B506
	v_pk_mul_f32 v[4:5], v[4:5], s[60:61]                      // 00000000AF04: D3B14004 18007904
	v_pk_mul_f32 v[6:7], v[6:7], s[60:61]                      // 00000000AF0C: D3B14006 18007906
	v_exp_f32_e32 v4, v4                                       // 00000000AF14: 7E084104
	v_exp_f32_e32 v5, v5                                       // 00000000AF18: 7E0A4105
	v_exp_f32_e32 v6, v6                                       // 00000000AF1C: 7E0C4106
	v_exp_f32_e32 v7, v7                                       // 00000000AF20: 7E0E4107
	v_add_f32_e64 v4, v4, 1.0                                  // 00000000AF24: D1010004 0001E504
	v_add_f32_e64 v5, v5, 1.0                                  // 00000000AF2C: D1010005 0001E505
	v_add_f32_e64 v6, v6, 1.0                                  // 00000000AF34: D1010006 0001E506
	v_add_f32_e64 v7, v7, 1.0                                  // 00000000AF3C: D1010007 0001E507
	v_rcp_f32_e32 v4, v4                                       // 00000000AF44: 7E084504
	v_rcp_f32_e32 v5, v5                                       // 00000000AF48: 7E0A4505
	v_rcp_f32_e32 v6, v6                                       // 00000000AF4C: 7E0C4506
	v_rcp_f32_e32 v7, v7                                       // 00000000AF50: 7E0E4507
	v_mul_f32_e32 v88, v88, v4                                 // 00000000AF54: 0AB00958
	v_mul_f32_e32 v89, v89, v5                                 // 00000000AF58: 0AB20B59
	v_mul_f32_e32 v90, v90, v6                                 // 00000000AF5C: 0AB40D5A
	v_mul_f32_e32 v91, v91, v7                                 // 00000000AF60: 0AB60F5B
	v_mul_f32_e32 v88, v88, v124                               // 00000000AF64: 0AB0F958
	v_mul_f32_e32 v89, v89, v125                               // 00000000AF68: 0AB2FB59
	v_mul_f32_e32 v90, v90, v126                               // 00000000AF6C: 0AB4FD5A
	v_mul_f32_e32 v91, v91, v127                               // 00000000AF70: 0AB6FF5B
	v_pk_mul_f32 v[4:5], v[92:93], v[92:93]                    // 00000000AF74: D3B14004 1802B95C
	v_pk_mul_f32 v[6:7], v[94:95], v[94:95]                    // 00000000AF7C: D3B14006 1802BD5E
	v_pk_fma_f32 v[4:5], v[4:5], s[78:79], v[8:9]              // 00000000AF84: D3B04004 1C209D04
	v_pk_fma_f32 v[6:7], v[6:7], s[78:79], v[8:9]              // 00000000AF8C: D3B04006 1C209D06
	v_pk_mul_f32 v[4:5], v[4:5], v[92:93]                      // 00000000AF94: D3B14004 1802B904
	v_pk_mul_f32 v[6:7], v[6:7], v[94:95]                      // 00000000AF9C: D3B14006 1802BD06
	v_pk_mul_f32 v[4:5], v[4:5], s[60:61]                      // 00000000AFA4: D3B14004 18007904
	v_pk_mul_f32 v[6:7], v[6:7], s[60:61]                      // 00000000AFAC: D3B14006 18007906
	v_exp_f32_e32 v4, v4                                       // 00000000AFB4: 7E084104
	v_exp_f32_e32 v5, v5                                       // 00000000AFB8: 7E0A4105
	v_exp_f32_e32 v6, v6                                       // 00000000AFBC: 7E0C4106
	v_exp_f32_e32 v7, v7                                       // 00000000AFC0: 7E0E4107
	v_add_f32_e64 v4, v4, 1.0                                  // 00000000AFC4: D1010004 0001E504
	v_add_f32_e64 v5, v5, 1.0                                  // 00000000AFCC: D1010005 0001E505
	v_add_f32_e64 v6, v6, 1.0                                  // 00000000AFD4: D1010006 0001E506
	v_add_f32_e64 v7, v7, 1.0                                  // 00000000AFDC: D1010007 0001E507
	v_rcp_f32_e32 v4, v4                                       // 00000000AFE4: 7E084504
	v_rcp_f32_e32 v5, v5                                       // 00000000AFE8: 7E0A4505
	v_rcp_f32_e32 v6, v6                                       // 00000000AFEC: 7E0C4506
	v_rcp_f32_e32 v7, v7                                       // 00000000AFF0: 7E0E4507
	v_mul_f32_e32 v92, v92, v4                                 // 00000000AFF4: 0AB8095C
	v_mul_f32_e32 v93, v93, v5                                 // 00000000AFF8: 0ABA0B5D
	v_mul_f32_e32 v94, v94, v6                                 // 00000000AFFC: 0ABC0D5E
	v_mul_f32_e32 v95, v95, v7                                 // 00000000B000: 0ABE0F5F
	v_mul_f32_e32 v92, v92, v128                               // 00000000B004: 0AB9015C
	v_mul_f32_e32 v93, v93, v129                               // 00000000B008: 0ABB035D
	v_mul_f32_e32 v94, v94, v130                               // 00000000B00C: 0ABD055E
	v_mul_f32_e32 v95, v95, v131                               // 00000000B010: 0ABF075F
	v_pk_mul_f32 v[4:5], v[96:97], v[96:97]                    // 00000000B014: D3B14004 1802C160
	v_pk_mul_f32 v[6:7], v[98:99], v[98:99]                    // 00000000B01C: D3B14006 1802C562
	v_pk_fma_f32 v[4:5], v[4:5], s[78:79], v[8:9]              // 00000000B024: D3B04004 1C209D04
	v_pk_fma_f32 v[6:7], v[6:7], s[78:79], v[8:9]              // 00000000B02C: D3B04006 1C209D06
	v_pk_mul_f32 v[4:5], v[4:5], v[96:97]                      // 00000000B034: D3B14004 1802C104
	v_pk_mul_f32 v[6:7], v[6:7], v[98:99]                      // 00000000B03C: D3B14006 1802C506
	v_pk_mul_f32 v[4:5], v[4:5], s[60:61]                      // 00000000B044: D3B14004 18007904
	v_pk_mul_f32 v[6:7], v[6:7], s[60:61]                      // 00000000B04C: D3B14006 18007906
	v_exp_f32_e32 v4, v4                                       // 00000000B054: 7E084104
	v_exp_f32_e32 v5, v5                                       // 00000000B058: 7E0A4105
	v_exp_f32_e32 v6, v6                                       // 00000000B05C: 7E0C4106
	v_exp_f32_e32 v7, v7                                       // 00000000B060: 7E0E4107
	v_add_f32_e64 v4, v4, 1.0                                  // 00000000B064: D1010004 0001E504
	v_add_f32_e64 v5, v5, 1.0                                  // 00000000B06C: D1010005 0001E505
	v_add_f32_e64 v6, v6, 1.0                                  // 00000000B074: D1010006 0001E506
	v_add_f32_e64 v7, v7, 1.0                                  // 00000000B07C: D1010007 0001E507
	v_rcp_f32_e32 v4, v4                                       // 00000000B084: 7E084504
	v_rcp_f32_e32 v5, v5                                       // 00000000B088: 7E0A4505
	v_rcp_f32_e32 v6, v6                                       // 00000000B08C: 7E0C4506
	v_rcp_f32_e32 v7, v7                                       // 00000000B090: 7E0E4507
	v_mul_f32_e32 v96, v96, v4                                 // 00000000B094: 0AC00960
	v_mul_f32_e32 v97, v97, v5                                 // 00000000B098: 0AC20B61
	v_mul_f32_e32 v98, v98, v6                                 // 00000000B09C: 0AC40D62
	v_mul_f32_e32 v99, v99, v7                                 // 00000000B0A0: 0AC60F63
	v_mul_f32_e32 v96, v96, v132                               // 00000000B0A4: 0AC10960
	v_mul_f32_e32 v97, v97, v133                               // 00000000B0A8: 0AC30B61
	v_mul_f32_e32 v98, v98, v134                               // 00000000B0AC: 0AC50D62
	v_mul_f32_e32 v99, v99, v135                               // 00000000B0B0: 0AC70F63
	v_pk_mul_f32 v[4:5], v[100:101], v[100:101]                // 00000000B0B4: D3B14004 1802C964
	v_pk_mul_f32 v[6:7], v[102:103], v[102:103]                // 00000000B0BC: D3B14006 1802CD66
	v_pk_fma_f32 v[4:5], v[4:5], s[78:79], v[8:9]              // 00000000B0C4: D3B04004 1C209D04
	v_pk_fma_f32 v[6:7], v[6:7], s[78:79], v[8:9]              // 00000000B0CC: D3B04006 1C209D06
	v_pk_mul_f32 v[4:5], v[4:5], v[100:101]                    // 00000000B0D4: D3B14004 1802C904
	v_pk_mul_f32 v[6:7], v[6:7], v[102:103]                    // 00000000B0DC: D3B14006 1802CD06
	v_pk_mul_f32 v[4:5], v[4:5], s[60:61]                      // 00000000B0E4: D3B14004 18007904
	v_pk_mul_f32 v[6:7], v[6:7], s[60:61]                      // 00000000B0EC: D3B14006 18007906
	v_exp_f32_e32 v4, v4                                       // 00000000B0F4: 7E084104
	v_exp_f32_e32 v5, v5                                       // 00000000B0F8: 7E0A4105
	v_exp_f32_e32 v6, v6                                       // 00000000B0FC: 7E0C4106
	v_exp_f32_e32 v7, v7                                       // 00000000B100: 7E0E4107
	v_add_f32_e64 v4, v4, 1.0                                  // 00000000B104: D1010004 0001E504
	v_add_f32_e64 v5, v5, 1.0                                  // 00000000B10C: D1010005 0001E505
	v_add_f32_e64 v6, v6, 1.0                                  // 00000000B114: D1010006 0001E506
	v_add_f32_e64 v7, v7, 1.0                                  // 00000000B11C: D1010007 0001E507
	v_rcp_f32_e32 v4, v4                                       // 00000000B124: 7E084504
	v_rcp_f32_e32 v5, v5                                       // 00000000B128: 7E0A4505
	v_rcp_f32_e32 v6, v6                                       // 00000000B12C: 7E0C4506
	v_rcp_f32_e32 v7, v7                                       // 00000000B130: 7E0E4507
	v_mul_f32_e32 v100, v100, v4                               // 00000000B134: 0AC80964
	v_mul_f32_e32 v101, v101, v5                               // 00000000B138: 0ACA0B65
	v_mul_f32_e32 v102, v102, v6                               // 00000000B13C: 0ACC0D66
	v_mul_f32_e32 v103, v103, v7                               // 00000000B140: 0ACE0F67
	v_mul_f32_e32 v100, v100, v136                             // 00000000B144: 0AC91164
	v_mul_f32_e32 v101, v101, v137                             // 00000000B148: 0ACB1365
	v_mul_f32_e32 v102, v102, v138                             // 00000000B14C: 0ACD1566
	v_mul_f32_e32 v103, v103, v139                             // 00000000B150: 0ACF1767
	v_pk_mul_f32 v[4:5], v[104:105], v[104:105]                // 00000000B154: D3B14004 1802D168
	v_pk_mul_f32 v[6:7], v[106:107], v[106:107]                // 00000000B15C: D3B14006 1802D56A
	v_pk_fma_f32 v[4:5], v[4:5], s[78:79], v[8:9]              // 00000000B164: D3B04004 1C209D04
	v_pk_fma_f32 v[6:7], v[6:7], s[78:79], v[8:9]              // 00000000B16C: D3B04006 1C209D06
	v_pk_mul_f32 v[4:5], v[4:5], v[104:105]                    // 00000000B174: D3B14004 1802D104
	v_pk_mul_f32 v[6:7], v[6:7], v[106:107]                    // 00000000B17C: D3B14006 1802D506
	v_pk_mul_f32 v[4:5], v[4:5], s[60:61]                      // 00000000B184: D3B14004 18007904
	v_pk_mul_f32 v[6:7], v[6:7], s[60:61]                      // 00000000B18C: D3B14006 18007906
	v_exp_f32_e32 v4, v4                                       // 00000000B194: 7E084104
	v_exp_f32_e32 v5, v5                                       // 00000000B198: 7E0A4105
	v_exp_f32_e32 v6, v6                                       // 00000000B19C: 7E0C4106
	v_exp_f32_e32 v7, v7                                       // 00000000B1A0: 7E0E4107
	v_add_f32_e64 v4, v4, 1.0                                  // 00000000B1A4: D1010004 0001E504
	v_add_f32_e64 v5, v5, 1.0                                  // 00000000B1AC: D1010005 0001E505
	v_add_f32_e64 v6, v6, 1.0                                  // 00000000B1B4: D1010006 0001E506
	v_add_f32_e64 v7, v7, 1.0                                  // 00000000B1BC: D1010007 0001E507
	v_rcp_f32_e32 v4, v4                                       // 00000000B1C4: 7E084504
	v_rcp_f32_e32 v5, v5                                       // 00000000B1C8: 7E0A4505
	v_rcp_f32_e32 v6, v6                                       // 00000000B1CC: 7E0C4506
	v_rcp_f32_e32 v7, v7                                       // 00000000B1D0: 7E0E4507
	v_mul_f32_e32 v104, v104, v4                               // 00000000B1D4: 0AD00968
	v_mul_f32_e32 v105, v105, v5                               // 00000000B1D8: 0AD20B69
	v_mul_f32_e32 v106, v106, v6                               // 00000000B1DC: 0AD40D6A
	v_mul_f32_e32 v107, v107, v7                               // 00000000B1E0: 0AD60F6B
	v_mul_f32_e32 v104, v104, v140                             // 00000000B1E4: 0AD11968
	v_mul_f32_e32 v105, v105, v141                             // 00000000B1E8: 0AD31B69
	v_mul_f32_e32 v106, v106, v142                             // 00000000B1EC: 0AD51D6A
	v_mul_f32_e32 v107, v107, v143                             // 00000000B1F0: 0AD71F6B
	v_pk_mul_f32 v[4:5], v[108:109], v[108:109]                // 00000000B1F4: D3B14004 1802D96C
	v_pk_mul_f32 v[6:7], v[110:111], v[110:111]                // 00000000B1FC: D3B14006 1802DD6E
	v_pk_fma_f32 v[4:5], v[4:5], s[78:79], v[8:9]              // 00000000B204: D3B04004 1C209D04
	v_pk_fma_f32 v[6:7], v[6:7], s[78:79], v[8:9]              // 00000000B20C: D3B04006 1C209D06
	v_pk_mul_f32 v[4:5], v[4:5], v[108:109]                    // 00000000B214: D3B14004 1802D904
	v_pk_mul_f32 v[6:7], v[6:7], v[110:111]                    // 00000000B21C: D3B14006 1802DD06
	v_pk_mul_f32 v[4:5], v[4:5], s[60:61]                      // 00000000B224: D3B14004 18007904
	v_pk_mul_f32 v[6:7], v[6:7], s[60:61]                      // 00000000B22C: D3B14006 18007906
	v_exp_f32_e32 v4, v4                                       // 00000000B234: 7E084104
	v_exp_f32_e32 v5, v5                                       // 00000000B238: 7E0A4105
	v_exp_f32_e32 v6, v6                                       // 00000000B23C: 7E0C4106
	v_exp_f32_e32 v7, v7                                       // 00000000B240: 7E0E4107
	v_add_f32_e64 v4, v4, 1.0                                  // 00000000B244: D1010004 0001E504
	v_add_f32_e64 v5, v5, 1.0                                  // 00000000B24C: D1010005 0001E505
	v_add_f32_e64 v6, v6, 1.0                                  // 00000000B254: D1010006 0001E506
	v_add_f32_e64 v7, v7, 1.0                                  // 00000000B25C: D1010007 0001E507
	v_rcp_f32_e32 v4, v4                                       // 00000000B264: 7E084504
	v_rcp_f32_e32 v5, v5                                       // 00000000B268: 7E0A4505
	v_rcp_f32_e32 v6, v6                                       // 00000000B26C: 7E0C4506
	v_rcp_f32_e32 v7, v7                                       // 00000000B270: 7E0E4507
	v_mul_f32_e32 v108, v108, v4                               // 00000000B274: 0AD8096C
	v_mul_f32_e32 v109, v109, v5                               // 00000000B278: 0ADA0B6D
	v_mul_f32_e32 v110, v110, v6                               // 00000000B27C: 0ADC0D6E
	v_mul_f32_e32 v111, v111, v7                               // 00000000B280: 0ADE0F6F
	v_mul_f32_e32 v108, v108, v144                             // 00000000B284: 0AD9216C
	v_mul_f32_e32 v109, v109, v145                             // 00000000B288: 0ADB236D
	v_mul_f32_e32 v110, v110, v146                             // 00000000B28C: 0ADD256E
	v_mul_f32_e32 v111, v111, v147                             // 00000000B290: 0ADF276F
	v_pk_mul_f32 v[4:5], v[112:113], v[112:113]                // 00000000B294: D3B14004 1802E170
	v_pk_mul_f32 v[6:7], v[114:115], v[114:115]                // 00000000B29C: D3B14006 1802E572
	v_pk_fma_f32 v[4:5], v[4:5], s[78:79], v[8:9]              // 00000000B2A4: D3B04004 1C209D04
	v_pk_fma_f32 v[6:7], v[6:7], s[78:79], v[8:9]              // 00000000B2AC: D3B04006 1C209D06
	v_pk_mul_f32 v[4:5], v[4:5], v[112:113]                    // 00000000B2B4: D3B14004 1802E104
	v_pk_mul_f32 v[6:7], v[6:7], v[114:115]                    // 00000000B2BC: D3B14006 1802E506
	v_pk_mul_f32 v[4:5], v[4:5], s[60:61]                      // 00000000B2C4: D3B14004 18007904
	v_pk_mul_f32 v[6:7], v[6:7], s[60:61]                      // 00000000B2CC: D3B14006 18007906
	v_exp_f32_e32 v4, v4                                       // 00000000B2D4: 7E084104
	v_exp_f32_e32 v5, v5                                       // 00000000B2D8: 7E0A4105
	v_exp_f32_e32 v6, v6                                       // 00000000B2DC: 7E0C4106
	v_exp_f32_e32 v7, v7                                       // 00000000B2E0: 7E0E4107
	v_add_f32_e64 v4, v4, 1.0                                  // 00000000B2E4: D1010004 0001E504
	v_add_f32_e64 v5, v5, 1.0                                  // 00000000B2EC: D1010005 0001E505
	v_add_f32_e64 v6, v6, 1.0                                  // 00000000B2F4: D1010006 0001E506
	v_add_f32_e64 v7, v7, 1.0                                  // 00000000B2FC: D1010007 0001E507
	v_rcp_f32_e32 v4, v4                                       // 00000000B304: 7E084504
	v_rcp_f32_e32 v5, v5                                       // 00000000B308: 7E0A4505
	v_rcp_f32_e32 v6, v6                                       // 00000000B30C: 7E0C4506
	v_rcp_f32_e32 v7, v7                                       // 00000000B310: 7E0E4507
	v_mul_f32_e32 v112, v112, v4                               // 00000000B314: 0AE00970
	v_mul_f32_e32 v113, v113, v5                               // 00000000B318: 0AE20B71
	v_mul_f32_e32 v114, v114, v6                               // 00000000B31C: 0AE40D72
	v_mul_f32_e32 v115, v115, v7                               // 00000000B320: 0AE60F73
	v_mul_f32_e32 v112, v112, v148                             // 00000000B324: 0AE12970
	v_mul_f32_e32 v113, v113, v149                             // 00000000B328: 0AE32B71
	v_mul_f32_e32 v114, v114, v150                             // 00000000B32C: 0AE52D72
	v_mul_f32_e32 v115, v115, v151                             // 00000000B330: 0AE72F73
	v_pk_mul_f32 v[4:5], v[116:117], v[116:117]                // 00000000B334: D3B14004 1802E974
	v_pk_mul_f32 v[6:7], v[118:119], v[118:119]                // 00000000B33C: D3B14006 1802ED76
	v_pk_fma_f32 v[4:5], v[4:5], s[78:79], v[8:9]              // 00000000B344: D3B04004 1C209D04
	v_pk_fma_f32 v[6:7], v[6:7], s[78:79], v[8:9]              // 00000000B34C: D3B04006 1C209D06
	v_pk_mul_f32 v[4:5], v[4:5], v[116:117]                    // 00000000B354: D3B14004 1802E904
	v_pk_mul_f32 v[6:7], v[6:7], v[118:119]                    // 00000000B35C: D3B14006 1802ED06
	v_pk_mul_f32 v[4:5], v[4:5], s[60:61]                      // 00000000B364: D3B14004 18007904
	v_pk_mul_f32 v[6:7], v[6:7], s[60:61]                      // 00000000B36C: D3B14006 18007906
	v_exp_f32_e32 v4, v4                                       // 00000000B374: 7E084104
	v_exp_f32_e32 v5, v5                                       // 00000000B378: 7E0A4105
	v_exp_f32_e32 v6, v6                                       // 00000000B37C: 7E0C4106
	v_exp_f32_e32 v7, v7                                       // 00000000B380: 7E0E4107
	v_add_f32_e64 v4, v4, 1.0                                  // 00000000B384: D1010004 0001E504
	v_add_f32_e64 v5, v5, 1.0                                  // 00000000B38C: D1010005 0001E505
	v_add_f32_e64 v6, v6, 1.0                                  // 00000000B394: D1010006 0001E506
	v_add_f32_e64 v7, v7, 1.0                                  // 00000000B39C: D1010007 0001E507
	v_rcp_f32_e32 v4, v4                                       // 00000000B3A4: 7E084504
	v_rcp_f32_e32 v5, v5                                       // 00000000B3A8: 7E0A4505
	v_rcp_f32_e32 v6, v6                                       // 00000000B3AC: 7E0C4506
	v_rcp_f32_e32 v7, v7                                       // 00000000B3B0: 7E0E4507
	v_mul_f32_e32 v116, v116, v4                               // 00000000B3B4: 0AE80974
	v_mul_f32_e32 v117, v117, v5                               // 00000000B3B8: 0AEA0B75
	v_mul_f32_e32 v118, v118, v6                               // 00000000B3BC: 0AEC0D76
	v_mul_f32_e32 v119, v119, v7                               // 00000000B3C0: 0AEE0F77
	v_mul_f32_e32 v116, v116, v152                             // 00000000B3C4: 0AE93174
	v_mul_f32_e32 v117, v117, v153                             // 00000000B3C8: 0AEB3375
	v_mul_f32_e32 v118, v118, v154                             // 00000000B3CC: 0AED3576
	v_mul_f32_e32 v119, v119, v155                             // 00000000B3D0: 0AEF3777
	v_pk_mul_f32 v[4:5], v[120:121], v[120:121]                // 00000000B3D4: D3B14004 1802F178
	v_pk_mul_f32 v[6:7], v[122:123], v[122:123]                // 00000000B3DC: D3B14006 1802F57A
	v_pk_fma_f32 v[4:5], v[4:5], s[78:79], v[8:9]              // 00000000B3E4: D3B04004 1C209D04
	v_pk_fma_f32 v[6:7], v[6:7], s[78:79], v[8:9]              // 00000000B3EC: D3B04006 1C209D06
	v_pk_mul_f32 v[4:5], v[4:5], v[120:121]                    // 00000000B3F4: D3B14004 1802F104
	v_pk_mul_f32 v[6:7], v[6:7], v[122:123]                    // 00000000B3FC: D3B14006 1802F506
	v_pk_mul_f32 v[4:5], v[4:5], s[60:61]                      // 00000000B404: D3B14004 18007904
	v_pk_mul_f32 v[6:7], v[6:7], s[60:61]                      // 00000000B40C: D3B14006 18007906
	v_exp_f32_e32 v4, v4                                       // 00000000B414: 7E084104
	v_exp_f32_e32 v5, v5                                       // 00000000B418: 7E0A4105
	v_exp_f32_e32 v6, v6                                       // 00000000B41C: 7E0C4106
	v_exp_f32_e32 v7, v7                                       // 00000000B420: 7E0E4107
	v_add_f32_e64 v4, v4, 1.0                                  // 00000000B424: D1010004 0001E504
	v_add_f32_e64 v5, v5, 1.0                                  // 00000000B42C: D1010005 0001E505
	v_add_f32_e64 v6, v6, 1.0                                  // 00000000B434: D1010006 0001E506
	v_add_f32_e64 v7, v7, 1.0                                  // 00000000B43C: D1010007 0001E507
	v_rcp_f32_e32 v4, v4                                       // 00000000B444: 7E084504
	v_rcp_f32_e32 v5, v5                                       // 00000000B448: 7E0A4505
	v_rcp_f32_e32 v6, v6                                       // 00000000B44C: 7E0C4506
	v_rcp_f32_e32 v7, v7                                       // 00000000B450: 7E0E4507
	v_mul_f32_e32 v120, v120, v4                               // 00000000B454: 0AF00978
	v_mul_f32_e32 v121, v121, v5                               // 00000000B458: 0AF20B79
	v_mul_f32_e32 v122, v122, v6                               // 00000000B45C: 0AF40D7A
	v_mul_f32_e32 v123, v123, v7                               // 00000000B460: 0AF60F7B
	v_mul_f32_e32 v120, v120, v156                             // 00000000B464: 0AF13978
	v_mul_f32_e32 v121, v121, v157                             // 00000000B468: 0AF33B79
	v_mul_f32_e32 v122, v122, v158                             // 00000000B46C: 0AF53D7A
	v_mul_f32_e32 v123, v123, v159                             // 00000000B470: 0AF73F7B
	s_branch label_23C1                                        // 00000000B474: BF820120

000000000000b478 <label_22A1>:
	v_mul_f32_e64 v4, -v88, s6                                 // 00000000B478: D1050004 20000D58
	v_mul_f32_e64 v5, -v89, s6                                 // 00000000B480: D1050005 20000D59
	v_mul_f32_e64 v6, -v90, s6                                 // 00000000B488: D1050006 20000D5A
	v_mul_f32_e64 v7, -v91, s6                                 // 00000000B490: D1050007 20000D5B
	v_exp_f32_e32 v4, v4                                       // 00000000B498: 7E084104
	v_exp_f32_e32 v5, v5                                       // 00000000B49C: 7E0A4105
	v_exp_f32_e32 v6, v6                                       // 00000000B4A0: 7E0C4106
	v_exp_f32_e32 v7, v7                                       // 00000000B4A4: 7E0E4107
	v_add_f32_e64 v4, v4, 1.0                                  // 00000000B4A8: D1010004 0001E504
	v_add_f32_e64 v5, v5, 1.0                                  // 00000000B4B0: D1010005 0001E505
	v_add_f32_e64 v6, v6, 1.0                                  // 00000000B4B8: D1010006 0001E506
	v_add_f32_e64 v7, v7, 1.0                                  // 00000000B4C0: D1010007 0001E507
	v_rcp_f32_e32 v4, v4                                       // 00000000B4C8: 7E084504
	v_rcp_f32_e32 v5, v5                                       // 00000000B4CC: 7E0A4505
	v_rcp_f32_e32 v6, v6                                       // 00000000B4D0: 7E0C4506
	v_rcp_f32_e32 v7, v7                                       // 00000000B4D4: 7E0E4507
	v_mul_f32_e32 v88, v88, v4                                 // 00000000B4D8: 0AB00958
	v_mul_f32_e32 v89, v89, v5                                 // 00000000B4DC: 0AB20B59
	v_mul_f32_e32 v90, v90, v6                                 // 00000000B4E0: 0AB40D5A
	v_mul_f32_e32 v91, v91, v7                                 // 00000000B4E4: 0AB60F5B
	v_mul_f32_e32 v88, v88, v124                               // 00000000B4E8: 0AB0F958
	v_mul_f32_e32 v89, v89, v125                               // 00000000B4EC: 0AB2FB59
	v_mul_f32_e32 v90, v90, v126                               // 00000000B4F0: 0AB4FD5A
	v_mul_f32_e32 v91, v91, v127                               // 00000000B4F4: 0AB6FF5B
	v_mul_f32_e64 v4, -v92, s6                                 // 00000000B4F8: D1050004 20000D5C
	v_mul_f32_e64 v5, -v93, s6                                 // 00000000B500: D1050005 20000D5D
	v_mul_f32_e64 v6, -v94, s6                                 // 00000000B508: D1050006 20000D5E
	v_mul_f32_e64 v7, -v95, s6                                 // 00000000B510: D1050007 20000D5F
	v_exp_f32_e32 v4, v4                                       // 00000000B518: 7E084104
	v_exp_f32_e32 v5, v5                                       // 00000000B51C: 7E0A4105
	v_exp_f32_e32 v6, v6                                       // 00000000B520: 7E0C4106
	v_exp_f32_e32 v7, v7                                       // 00000000B524: 7E0E4107
	v_add_f32_e64 v4, v4, 1.0                                  // 00000000B528: D1010004 0001E504
	v_add_f32_e64 v5, v5, 1.0                                  // 00000000B530: D1010005 0001E505
	v_add_f32_e64 v6, v6, 1.0                                  // 00000000B538: D1010006 0001E506
	v_add_f32_e64 v7, v7, 1.0                                  // 00000000B540: D1010007 0001E507
	v_rcp_f32_e32 v4, v4                                       // 00000000B548: 7E084504
	v_rcp_f32_e32 v5, v5                                       // 00000000B54C: 7E0A4505
	v_rcp_f32_e32 v6, v6                                       // 00000000B550: 7E0C4506
	v_rcp_f32_e32 v7, v7                                       // 00000000B554: 7E0E4507
	v_mul_f32_e32 v92, v92, v4                                 // 00000000B558: 0AB8095C
	v_mul_f32_e32 v93, v93, v5                                 // 00000000B55C: 0ABA0B5D
	v_mul_f32_e32 v94, v94, v6                                 // 00000000B560: 0ABC0D5E
	v_mul_f32_e32 v95, v95, v7                                 // 00000000B564: 0ABE0F5F
	v_mul_f32_e32 v92, v92, v128                               // 00000000B568: 0AB9015C
	v_mul_f32_e32 v93, v93, v129                               // 00000000B56C: 0ABB035D
	v_mul_f32_e32 v94, v94, v130                               // 00000000B570: 0ABD055E
	v_mul_f32_e32 v95, v95, v131                               // 00000000B574: 0ABF075F
	v_mul_f32_e64 v4, -v96, s6                                 // 00000000B578: D1050004 20000D60
	v_mul_f32_e64 v5, -v97, s6                                 // 00000000B580: D1050005 20000D61
	v_mul_f32_e64 v6, -v98, s6                                 // 00000000B588: D1050006 20000D62
	v_mul_f32_e64 v7, -v99, s6                                 // 00000000B590: D1050007 20000D63
	v_exp_f32_e32 v4, v4                                       // 00000000B598: 7E084104
	v_exp_f32_e32 v5, v5                                       // 00000000B59C: 7E0A4105
	v_exp_f32_e32 v6, v6                                       // 00000000B5A0: 7E0C4106
	v_exp_f32_e32 v7, v7                                       // 00000000B5A4: 7E0E4107
	v_add_f32_e64 v4, v4, 1.0                                  // 00000000B5A8: D1010004 0001E504
	v_add_f32_e64 v5, v5, 1.0                                  // 00000000B5B0: D1010005 0001E505
	v_add_f32_e64 v6, v6, 1.0                                  // 00000000B5B8: D1010006 0001E506
	v_add_f32_e64 v7, v7, 1.0                                  // 00000000B5C0: D1010007 0001E507
	v_rcp_f32_e32 v4, v4                                       // 00000000B5C8: 7E084504
	v_rcp_f32_e32 v5, v5                                       // 00000000B5CC: 7E0A4505
	v_rcp_f32_e32 v6, v6                                       // 00000000B5D0: 7E0C4506
	v_rcp_f32_e32 v7, v7                                       // 00000000B5D4: 7E0E4507
	v_mul_f32_e32 v96, v96, v4                                 // 00000000B5D8: 0AC00960
	v_mul_f32_e32 v97, v97, v5                                 // 00000000B5DC: 0AC20B61
	v_mul_f32_e32 v98, v98, v6                                 // 00000000B5E0: 0AC40D62
	v_mul_f32_e32 v99, v99, v7                                 // 00000000B5E4: 0AC60F63
	v_mul_f32_e32 v96, v96, v132                               // 00000000B5E8: 0AC10960
	v_mul_f32_e32 v97, v97, v133                               // 00000000B5EC: 0AC30B61
	v_mul_f32_e32 v98, v98, v134                               // 00000000B5F0: 0AC50D62
	v_mul_f32_e32 v99, v99, v135                               // 00000000B5F4: 0AC70F63
	v_mul_f32_e64 v4, -v100, s6                                // 00000000B5F8: D1050004 20000D64
	v_mul_f32_e64 v5, -v101, s6                                // 00000000B600: D1050005 20000D65
	v_mul_f32_e64 v6, -v102, s6                                // 00000000B608: D1050006 20000D66
	v_mul_f32_e64 v7, -v103, s6                                // 00000000B610: D1050007 20000D67
	v_exp_f32_e32 v4, v4                                       // 00000000B618: 7E084104
	v_exp_f32_e32 v5, v5                                       // 00000000B61C: 7E0A4105
	v_exp_f32_e32 v6, v6                                       // 00000000B620: 7E0C4106
	v_exp_f32_e32 v7, v7                                       // 00000000B624: 7E0E4107
	v_add_f32_e64 v4, v4, 1.0                                  // 00000000B628: D1010004 0001E504
	v_add_f32_e64 v5, v5, 1.0                                  // 00000000B630: D1010005 0001E505
	v_add_f32_e64 v6, v6, 1.0                                  // 00000000B638: D1010006 0001E506
	v_add_f32_e64 v7, v7, 1.0                                  // 00000000B640: D1010007 0001E507
	v_rcp_f32_e32 v4, v4                                       // 00000000B648: 7E084504
	v_rcp_f32_e32 v5, v5                                       // 00000000B64C: 7E0A4505
	v_rcp_f32_e32 v6, v6                                       // 00000000B650: 7E0C4506
	v_rcp_f32_e32 v7, v7                                       // 00000000B654: 7E0E4507
	v_mul_f32_e32 v100, v100, v4                               // 00000000B658: 0AC80964
	v_mul_f32_e32 v101, v101, v5                               // 00000000B65C: 0ACA0B65
	v_mul_f32_e32 v102, v102, v6                               // 00000000B660: 0ACC0D66
	v_mul_f32_e32 v103, v103, v7                               // 00000000B664: 0ACE0F67
	v_mul_f32_e32 v100, v100, v136                             // 00000000B668: 0AC91164
	v_mul_f32_e32 v101, v101, v137                             // 00000000B66C: 0ACB1365
	v_mul_f32_e32 v102, v102, v138                             // 00000000B670: 0ACD1566
	v_mul_f32_e32 v103, v103, v139                             // 00000000B674: 0ACF1767
	v_mul_f32_e64 v4, -v104, s6                                // 00000000B678: D1050004 20000D68
	v_mul_f32_e64 v5, -v105, s6                                // 00000000B680: D1050005 20000D69
	v_mul_f32_e64 v6, -v106, s6                                // 00000000B688: D1050006 20000D6A
	v_mul_f32_e64 v7, -v107, s6                                // 00000000B690: D1050007 20000D6B
	v_exp_f32_e32 v4, v4                                       // 00000000B698: 7E084104
	v_exp_f32_e32 v5, v5                                       // 00000000B69C: 7E0A4105
	v_exp_f32_e32 v6, v6                                       // 00000000B6A0: 7E0C4106
	v_exp_f32_e32 v7, v7                                       // 00000000B6A4: 7E0E4107
	v_add_f32_e64 v4, v4, 1.0                                  // 00000000B6A8: D1010004 0001E504
	v_add_f32_e64 v5, v5, 1.0                                  // 00000000B6B0: D1010005 0001E505
	v_add_f32_e64 v6, v6, 1.0                                  // 00000000B6B8: D1010006 0001E506
	v_add_f32_e64 v7, v7, 1.0                                  // 00000000B6C0: D1010007 0001E507
	v_rcp_f32_e32 v4, v4                                       // 00000000B6C8: 7E084504
	v_rcp_f32_e32 v5, v5                                       // 00000000B6CC: 7E0A4505
	v_rcp_f32_e32 v6, v6                                       // 00000000B6D0: 7E0C4506
	v_rcp_f32_e32 v7, v7                                       // 00000000B6D4: 7E0E4507
	v_mul_f32_e32 v104, v104, v4                               // 00000000B6D8: 0AD00968
	v_mul_f32_e32 v105, v105, v5                               // 00000000B6DC: 0AD20B69
	v_mul_f32_e32 v106, v106, v6                               // 00000000B6E0: 0AD40D6A
	v_mul_f32_e32 v107, v107, v7                               // 00000000B6E4: 0AD60F6B
	v_mul_f32_e32 v104, v104, v140                             // 00000000B6E8: 0AD11968
	v_mul_f32_e32 v105, v105, v141                             // 00000000B6EC: 0AD31B69
	v_mul_f32_e32 v106, v106, v142                             // 00000000B6F0: 0AD51D6A
	v_mul_f32_e32 v107, v107, v143                             // 00000000B6F4: 0AD71F6B
	v_mul_f32_e64 v4, -v108, s6                                // 00000000B6F8: D1050004 20000D6C
	v_mul_f32_e64 v5, -v109, s6                                // 00000000B700: D1050005 20000D6D
	v_mul_f32_e64 v6, -v110, s6                                // 00000000B708: D1050006 20000D6E
	v_mul_f32_e64 v7, -v111, s6                                // 00000000B710: D1050007 20000D6F
	v_exp_f32_e32 v4, v4                                       // 00000000B718: 7E084104
	v_exp_f32_e32 v5, v5                                       // 00000000B71C: 7E0A4105
	v_exp_f32_e32 v6, v6                                       // 00000000B720: 7E0C4106
	v_exp_f32_e32 v7, v7                                       // 00000000B724: 7E0E4107
	v_add_f32_e64 v4, v4, 1.0                                  // 00000000B728: D1010004 0001E504
	v_add_f32_e64 v5, v5, 1.0                                  // 00000000B730: D1010005 0001E505
	v_add_f32_e64 v6, v6, 1.0                                  // 00000000B738: D1010006 0001E506
	v_add_f32_e64 v7, v7, 1.0                                  // 00000000B740: D1010007 0001E507
	v_rcp_f32_e32 v4, v4                                       // 00000000B748: 7E084504
	v_rcp_f32_e32 v5, v5                                       // 00000000B74C: 7E0A4505
	v_rcp_f32_e32 v6, v6                                       // 00000000B750: 7E0C4506
	v_rcp_f32_e32 v7, v7                                       // 00000000B754: 7E0E4507
	v_mul_f32_e32 v108, v108, v4                               // 00000000B758: 0AD8096C
	v_mul_f32_e32 v109, v109, v5                               // 00000000B75C: 0ADA0B6D
	v_mul_f32_e32 v110, v110, v6                               // 00000000B760: 0ADC0D6E
	v_mul_f32_e32 v111, v111, v7                               // 00000000B764: 0ADE0F6F
	v_mul_f32_e32 v108, v108, v144                             // 00000000B768: 0AD9216C
	v_mul_f32_e32 v109, v109, v145                             // 00000000B76C: 0ADB236D
	v_mul_f32_e32 v110, v110, v146                             // 00000000B770: 0ADD256E
	v_mul_f32_e32 v111, v111, v147                             // 00000000B774: 0ADF276F
	v_mul_f32_e64 v4, -v112, s6                                // 00000000B778: D1050004 20000D70
	v_mul_f32_e64 v5, -v113, s6                                // 00000000B780: D1050005 20000D71
	v_mul_f32_e64 v6, -v114, s6                                // 00000000B788: D1050006 20000D72
	v_mul_f32_e64 v7, -v115, s6                                // 00000000B790: D1050007 20000D73
	v_exp_f32_e32 v4, v4                                       // 00000000B798: 7E084104
	v_exp_f32_e32 v5, v5                                       // 00000000B79C: 7E0A4105
	v_exp_f32_e32 v6, v6                                       // 00000000B7A0: 7E0C4106
	v_exp_f32_e32 v7, v7                                       // 00000000B7A4: 7E0E4107
	v_add_f32_e64 v4, v4, 1.0                                  // 00000000B7A8: D1010004 0001E504
	v_add_f32_e64 v5, v5, 1.0                                  // 00000000B7B0: D1010005 0001E505
	v_add_f32_e64 v6, v6, 1.0                                  // 00000000B7B8: D1010006 0001E506
	v_add_f32_e64 v7, v7, 1.0                                  // 00000000B7C0: D1010007 0001E507
	v_rcp_f32_e32 v4, v4                                       // 00000000B7C8: 7E084504
	v_rcp_f32_e32 v5, v5                                       // 00000000B7CC: 7E0A4505
	v_rcp_f32_e32 v6, v6                                       // 00000000B7D0: 7E0C4506
	v_rcp_f32_e32 v7, v7                                       // 00000000B7D4: 7E0E4507
	v_mul_f32_e32 v112, v112, v4                               // 00000000B7D8: 0AE00970
	v_mul_f32_e32 v113, v113, v5                               // 00000000B7DC: 0AE20B71
	v_mul_f32_e32 v114, v114, v6                               // 00000000B7E0: 0AE40D72
	v_mul_f32_e32 v115, v115, v7                               // 00000000B7E4: 0AE60F73
	v_mul_f32_e32 v112, v112, v148                             // 00000000B7E8: 0AE12970
	v_mul_f32_e32 v113, v113, v149                             // 00000000B7EC: 0AE32B71
	v_mul_f32_e32 v114, v114, v150                             // 00000000B7F0: 0AE52D72
	v_mul_f32_e32 v115, v115, v151                             // 00000000B7F4: 0AE72F73
	v_mul_f32_e64 v4, -v116, s6                                // 00000000B7F8: D1050004 20000D74
	v_mul_f32_e64 v5, -v117, s6                                // 00000000B800: D1050005 20000D75
	v_mul_f32_e64 v6, -v118, s6                                // 00000000B808: D1050006 20000D76
	v_mul_f32_e64 v7, -v119, s6                                // 00000000B810: D1050007 20000D77
	v_exp_f32_e32 v4, v4                                       // 00000000B818: 7E084104
	v_exp_f32_e32 v5, v5                                       // 00000000B81C: 7E0A4105
	v_exp_f32_e32 v6, v6                                       // 00000000B820: 7E0C4106
	v_exp_f32_e32 v7, v7                                       // 00000000B824: 7E0E4107
	v_add_f32_e64 v4, v4, 1.0                                  // 00000000B828: D1010004 0001E504
	v_add_f32_e64 v5, v5, 1.0                                  // 00000000B830: D1010005 0001E505
	v_add_f32_e64 v6, v6, 1.0                                  // 00000000B838: D1010006 0001E506
	v_add_f32_e64 v7, v7, 1.0                                  // 00000000B840: D1010007 0001E507
	v_rcp_f32_e32 v4, v4                                       // 00000000B848: 7E084504
	v_rcp_f32_e32 v5, v5                                       // 00000000B84C: 7E0A4505
	v_rcp_f32_e32 v6, v6                                       // 00000000B850: 7E0C4506
	v_rcp_f32_e32 v7, v7                                       // 00000000B854: 7E0E4507
	v_mul_f32_e32 v116, v116, v4                               // 00000000B858: 0AE80974
	v_mul_f32_e32 v117, v117, v5                               // 00000000B85C: 0AEA0B75
	v_mul_f32_e32 v118, v118, v6                               // 00000000B860: 0AEC0D76
	v_mul_f32_e32 v119, v119, v7                               // 00000000B864: 0AEE0F77
	v_mul_f32_e32 v116, v116, v152                             // 00000000B868: 0AE93174
	v_mul_f32_e32 v117, v117, v153                             // 00000000B86C: 0AEB3375
	v_mul_f32_e32 v118, v118, v154                             // 00000000B870: 0AED3576
	v_mul_f32_e32 v119, v119, v155                             // 00000000B874: 0AEF3777
	v_mul_f32_e64 v4, -v120, s6                                // 00000000B878: D1050004 20000D78
	v_mul_f32_e64 v5, -v121, s6                                // 00000000B880: D1050005 20000D79
	v_mul_f32_e64 v6, -v122, s6                                // 00000000B888: D1050006 20000D7A
	v_mul_f32_e64 v7, -v123, s6                                // 00000000B890: D1050007 20000D7B
	v_exp_f32_e32 v4, v4                                       // 00000000B898: 7E084104
	v_exp_f32_e32 v5, v5                                       // 00000000B89C: 7E0A4105
	v_exp_f32_e32 v6, v6                                       // 00000000B8A0: 7E0C4106
	v_exp_f32_e32 v7, v7                                       // 00000000B8A4: 7E0E4107
	v_add_f32_e64 v4, v4, 1.0                                  // 00000000B8A8: D1010004 0001E504
	v_add_f32_e64 v5, v5, 1.0                                  // 00000000B8B0: D1010005 0001E505
	v_add_f32_e64 v6, v6, 1.0                                  // 00000000B8B8: D1010006 0001E506
	v_add_f32_e64 v7, v7, 1.0                                  // 00000000B8C0: D1010007 0001E507
	v_rcp_f32_e32 v4, v4                                       // 00000000B8C8: 7E084504
	v_rcp_f32_e32 v5, v5                                       // 00000000B8CC: 7E0A4505
	v_rcp_f32_e32 v6, v6                                       // 00000000B8D0: 7E0C4506
	v_rcp_f32_e32 v7, v7                                       // 00000000B8D4: 7E0E4507
	v_mul_f32_e32 v120, v120, v4                               // 00000000B8D8: 0AF00978
	v_mul_f32_e32 v121, v121, v5                               // 00000000B8DC: 0AF20B79
	v_mul_f32_e32 v122, v122, v6                               // 00000000B8E0: 0AF40D7A
	v_mul_f32_e32 v123, v123, v7                               // 00000000B8E4: 0AF60F7B
	v_mul_f32_e32 v120, v120, v156                             // 00000000B8E8: 0AF13978
	v_mul_f32_e32 v121, v121, v157                             // 00000000B8EC: 0AF33B79
	v_mul_f32_e32 v122, v122, v158                             // 00000000B8F0: 0AF53D7A
	v_mul_f32_e32 v123, v123, v159                             // 00000000B8F4: 0AF73F7B

000000000000b8f8 <label_23C1>:
	v_cmp_u_f32_e64 s[46:47], v88, v88                         // 00000000B8F8: D048002E 0002B158
	v_add3_u32 v16, v88, v19, 1                                // 00000000B900: D1FF0010 02062758
	v_cndmask_b32_e64 v4, v16, v18, s[46:47]                   // 00000000B908: D1000004 00BA2510
	v_cmp_u_f32_e64 s[46:47], v89, v89                         // 00000000B910: D048002E 0002B359
	v_add3_u32 v16, v89, v19, 1                                // 00000000B918: D1FF0010 02062759
	v_cndmask_b32_e64 v5, v16, v18, s[46:47]                   // 00000000B920: D1000005 00BA2510
	v_perm_b32 v88, v5, v4, s52                                // 00000000B928: D1ED0058 00D20905
	v_cmp_u_f32_e64 s[46:47], v90, v90                         // 00000000B930: D048002E 0002B55A
	v_add3_u32 v16, v90, v19, 1                                // 00000000B938: D1FF0010 0206275A
	v_cndmask_b32_e64 v4, v16, v18, s[46:47]                   // 00000000B940: D1000004 00BA2510
	v_cmp_u_f32_e64 s[46:47], v91, v91                         // 00000000B948: D048002E 0002B75B
	v_add3_u32 v16, v91, v19, 1                                // 00000000B950: D1FF0010 0206275B
	v_cndmask_b32_e64 v5, v16, v18, s[46:47]                   // 00000000B958: D1000005 00BA2510
	v_perm_b32 v89, v5, v4, s52                                // 00000000B960: D1ED0059 00D20905
	v_cmp_u_f32_e64 s[46:47], v92, v92                         // 00000000B968: D048002E 0002B95C
	v_add3_u32 v16, v92, v19, 1                                // 00000000B970: D1FF0010 0206275C
	v_cndmask_b32_e64 v4, v16, v18, s[46:47]                   // 00000000B978: D1000004 00BA2510
	v_cmp_u_f32_e64 s[46:47], v93, v93                         // 00000000B980: D048002E 0002BB5D
	v_add3_u32 v16, v93, v19, 1                                // 00000000B988: D1FF0010 0206275D
	v_cndmask_b32_e64 v5, v16, v18, s[46:47]                   // 00000000B990: D1000005 00BA2510
	v_perm_b32 v90, v5, v4, s52                                // 00000000B998: D1ED005A 00D20905
	v_cmp_u_f32_e64 s[46:47], v94, v94                         // 00000000B9A0: D048002E 0002BD5E
	v_add3_u32 v16, v94, v19, 1                                // 00000000B9A8: D1FF0010 0206275E
	v_cndmask_b32_e64 v4, v16, v18, s[46:47]                   // 00000000B9B0: D1000004 00BA2510
	v_cmp_u_f32_e64 s[46:47], v95, v95                         // 00000000B9B8: D048002E 0002BF5F
	v_add3_u32 v16, v95, v19, 1                                // 00000000B9C0: D1FF0010 0206275F
	v_cndmask_b32_e64 v5, v16, v18, s[46:47]                   // 00000000B9C8: D1000005 00BA2510
	v_perm_b32 v91, v5, v4, s52                                // 00000000B9D0: D1ED005B 00D20905
	v_cmp_u_f32_e64 s[46:47], v96, v96                         // 00000000B9D8: D048002E 0002C160
	v_add3_u32 v16, v96, v19, 1                                // 00000000B9E0: D1FF0010 02062760
	v_cndmask_b32_e64 v4, v16, v18, s[46:47]                   // 00000000B9E8: D1000004 00BA2510
	v_cmp_u_f32_e64 s[46:47], v97, v97                         // 00000000B9F0: D048002E 0002C361
	v_add3_u32 v16, v97, v19, 1                                // 00000000B9F8: D1FF0010 02062761
	v_cndmask_b32_e64 v5, v16, v18, s[46:47]                   // 00000000BA00: D1000005 00BA2510
	v_perm_b32 v92, v5, v4, s52                                // 00000000BA08: D1ED005C 00D20905
	v_cmp_u_f32_e64 s[46:47], v98, v98                         // 00000000BA10: D048002E 0002C562
	v_add3_u32 v16, v98, v19, 1                                // 00000000BA18: D1FF0010 02062762
	v_cndmask_b32_e64 v4, v16, v18, s[46:47]                   // 00000000BA20: D1000004 00BA2510
	v_cmp_u_f32_e64 s[46:47], v99, v99                         // 00000000BA28: D048002E 0002C763
	v_add3_u32 v16, v99, v19, 1                                // 00000000BA30: D1FF0010 02062763
	v_cndmask_b32_e64 v5, v16, v18, s[46:47]                   // 00000000BA38: D1000005 00BA2510
	v_perm_b32 v93, v5, v4, s52                                // 00000000BA40: D1ED005D 00D20905
	v_cmp_u_f32_e64 s[46:47], v100, v100                       // 00000000BA48: D048002E 0002C964
	v_add3_u32 v16, v100, v19, 1                               // 00000000BA50: D1FF0010 02062764
	v_cndmask_b32_e64 v4, v16, v18, s[46:47]                   // 00000000BA58: D1000004 00BA2510
	v_cmp_u_f32_e64 s[46:47], v101, v101                       // 00000000BA60: D048002E 0002CB65
	v_add3_u32 v16, v101, v19, 1                               // 00000000BA68: D1FF0010 02062765
	v_cndmask_b32_e64 v5, v16, v18, s[46:47]                   // 00000000BA70: D1000005 00BA2510
	v_perm_b32 v94, v5, v4, s52                                // 00000000BA78: D1ED005E 00D20905
	v_cmp_u_f32_e64 s[46:47], v102, v102                       // 00000000BA80: D048002E 0002CD66
	v_add3_u32 v16, v102, v19, 1                               // 00000000BA88: D1FF0010 02062766
	v_cndmask_b32_e64 v4, v16, v18, s[46:47]                   // 00000000BA90: D1000004 00BA2510
	v_cmp_u_f32_e64 s[46:47], v103, v103                       // 00000000BA98: D048002E 0002CF67
	v_add3_u32 v16, v103, v19, 1                               // 00000000BAA0: D1FF0010 02062767
	v_cndmask_b32_e64 v5, v16, v18, s[46:47]                   // 00000000BAA8: D1000005 00BA2510
	v_perm_b32 v95, v5, v4, s52                                // 00000000BAB0: D1ED005F 00D20905
	v_cmp_u_f32_e64 s[46:47], v104, v104                       // 00000000BAB8: D048002E 0002D168
	v_add3_u32 v16, v104, v19, 1                               // 00000000BAC0: D1FF0010 02062768
	v_cndmask_b32_e64 v4, v16, v18, s[46:47]                   // 00000000BAC8: D1000004 00BA2510
	v_cmp_u_f32_e64 s[46:47], v105, v105                       // 00000000BAD0: D048002E 0002D369
	v_add3_u32 v16, v105, v19, 1                               // 00000000BAD8: D1FF0010 02062769
	v_cndmask_b32_e64 v5, v16, v18, s[46:47]                   // 00000000BAE0: D1000005 00BA2510
	v_perm_b32 v96, v5, v4, s52                                // 00000000BAE8: D1ED0060 00D20905
	v_cmp_u_f32_e64 s[46:47], v106, v106                       // 00000000BAF0: D048002E 0002D56A
	v_add3_u32 v16, v106, v19, 1                               // 00000000BAF8: D1FF0010 0206276A
	v_cndmask_b32_e64 v4, v16, v18, s[46:47]                   // 00000000BB00: D1000004 00BA2510
	v_cmp_u_f32_e64 s[46:47], v107, v107                       // 00000000BB08: D048002E 0002D76B
	v_add3_u32 v16, v107, v19, 1                               // 00000000BB10: D1FF0010 0206276B
	v_cndmask_b32_e64 v5, v16, v18, s[46:47]                   // 00000000BB18: D1000005 00BA2510
	v_perm_b32 v97, v5, v4, s52                                // 00000000BB20: D1ED0061 00D20905
	v_cmp_u_f32_e64 s[46:47], v108, v108                       // 00000000BB28: D048002E 0002D96C
	v_add3_u32 v16, v108, v19, 1                               // 00000000BB30: D1FF0010 0206276C
	v_cndmask_b32_e64 v4, v16, v18, s[46:47]                   // 00000000BB38: D1000004 00BA2510
	v_cmp_u_f32_e64 s[46:47], v109, v109                       // 00000000BB40: D048002E 0002DB6D
	v_add3_u32 v16, v109, v19, 1                               // 00000000BB48: D1FF0010 0206276D
	v_cndmask_b32_e64 v5, v16, v18, s[46:47]                   // 00000000BB50: D1000005 00BA2510
	v_perm_b32 v98, v5, v4, s52                                // 00000000BB58: D1ED0062 00D20905
	v_cmp_u_f32_e64 s[46:47], v110, v110                       // 00000000BB60: D048002E 0002DD6E
	v_add3_u32 v16, v110, v19, 1                               // 00000000BB68: D1FF0010 0206276E
	v_cndmask_b32_e64 v4, v16, v18, s[46:47]                   // 00000000BB70: D1000004 00BA2510
	v_cmp_u_f32_e64 s[46:47], v111, v111                       // 00000000BB78: D048002E 0002DF6F
	v_add3_u32 v16, v111, v19, 1                               // 00000000BB80: D1FF0010 0206276F
	v_cndmask_b32_e64 v5, v16, v18, s[46:47]                   // 00000000BB88: D1000005 00BA2510
	v_perm_b32 v99, v5, v4, s52                                // 00000000BB90: D1ED0063 00D20905
	v_cmp_u_f32_e64 s[46:47], v112, v112                       // 00000000BB98: D048002E 0002E170
	v_add3_u32 v16, v112, v19, 1                               // 00000000BBA0: D1FF0010 02062770
	v_cndmask_b32_e64 v4, v16, v18, s[46:47]                   // 00000000BBA8: D1000004 00BA2510
	v_cmp_u_f32_e64 s[46:47], v113, v113                       // 00000000BBB0: D048002E 0002E371
	v_add3_u32 v16, v113, v19, 1                               // 00000000BBB8: D1FF0010 02062771
	v_cndmask_b32_e64 v5, v16, v18, s[46:47]                   // 00000000BBC0: D1000005 00BA2510
	v_perm_b32 v100, v5, v4, s52                               // 00000000BBC8: D1ED0064 00D20905
	v_cmp_u_f32_e64 s[46:47], v114, v114                       // 00000000BBD0: D048002E 0002E572
	v_add3_u32 v16, v114, v19, 1                               // 00000000BBD8: D1FF0010 02062772
	v_cndmask_b32_e64 v4, v16, v18, s[46:47]                   // 00000000BBE0: D1000004 00BA2510
	v_cmp_u_f32_e64 s[46:47], v115, v115                       // 00000000BBE8: D048002E 0002E773
	v_add3_u32 v16, v115, v19, 1                               // 00000000BBF0: D1FF0010 02062773
	v_cndmask_b32_e64 v5, v16, v18, s[46:47]                   // 00000000BBF8: D1000005 00BA2510
	v_perm_b32 v101, v5, v4, s52                               // 00000000BC00: D1ED0065 00D20905
	v_cmp_u_f32_e64 s[46:47], v116, v116                       // 00000000BC08: D048002E 0002E974
	v_add3_u32 v16, v116, v19, 1                               // 00000000BC10: D1FF0010 02062774
	v_cndmask_b32_e64 v4, v16, v18, s[46:47]                   // 00000000BC18: D1000004 00BA2510
	v_cmp_u_f32_e64 s[46:47], v117, v117                       // 00000000BC20: D048002E 0002EB75
	v_add3_u32 v16, v117, v19, 1                               // 00000000BC28: D1FF0010 02062775
	v_cndmask_b32_e64 v5, v16, v18, s[46:47]                   // 00000000BC30: D1000005 00BA2510
	v_perm_b32 v102, v5, v4, s52                               // 00000000BC38: D1ED0066 00D20905
	v_cmp_u_f32_e64 s[46:47], v118, v118                       // 00000000BC40: D048002E 0002ED76
	v_add3_u32 v16, v118, v19, 1                               // 00000000BC48: D1FF0010 02062776
	v_cndmask_b32_e64 v4, v16, v18, s[46:47]                   // 00000000BC50: D1000004 00BA2510
	v_cmp_u_f32_e64 s[46:47], v119, v119                       // 00000000BC58: D048002E 0002EF77
	v_add3_u32 v16, v119, v19, 1                               // 00000000BC60: D1FF0010 02062777
	v_cndmask_b32_e64 v5, v16, v18, s[46:47]                   // 00000000BC68: D1000005 00BA2510
	v_perm_b32 v103, v5, v4, s52                               // 00000000BC70: D1ED0067 00D20905
	v_cmp_u_f32_e64 s[46:47], v120, v120                       // 00000000BC78: D048002E 0002F178
	v_add3_u32 v16, v120, v19, 1                               // 00000000BC80: D1FF0010 02062778
	v_cndmask_b32_e64 v4, v16, v18, s[46:47]                   // 00000000BC88: D1000004 00BA2510
	v_cmp_u_f32_e64 s[46:47], v121, v121                       // 00000000BC90: D048002E 0002F379
	v_add3_u32 v16, v121, v19, 1                               // 00000000BC98: D1FF0010 02062779
	v_cndmask_b32_e64 v5, v16, v18, s[46:47]                   // 00000000BCA0: D1000005 00BA2510
	v_perm_b32 v104, v5, v4, s52                               // 00000000BCA8: D1ED0068 00D20905
	v_cmp_u_f32_e64 s[46:47], v122, v122                       // 00000000BCB0: D048002E 0002F57A
	v_add3_u32 v16, v122, v19, 1                               // 00000000BCB8: D1FF0010 0206277A
	v_cndmask_b32_e64 v4, v16, v18, s[46:47]                   // 00000000BCC0: D1000004 00BA2510
	v_cmp_u_f32_e64 s[46:47], v123, v123                       // 00000000BCC8: D048002E 0002F77B
	v_add3_u32 v16, v123, v19, 1                               // 00000000BCD0: D1FF0010 0206277B
	v_cndmask_b32_e64 v5, v16, v18, s[46:47]                   // 00000000BCD8: D1000005 00BA2510
	v_perm_b32 v105, v5, v4, s52                               // 00000000BCE0: D1ED0069 00D20905
	ds_write_b64 v20, v[88:89]                                 // 00000000BCE8: D89A0000 00005814
	ds_write_b64 v20, v[90:91] offset:2176                     // 00000000BCF0: D89A0880 00005A14
	ds_write_b64 v20, v[92:93] offset:4352                     // 00000000BCF8: D89A1100 00005C14
	ds_write_b64 v20, v[94:95] offset:6528                     // 00000000BD00: D89A1980 00005E14
	ds_write_b64 v20, v[96:97] offset:8704                     // 00000000BD08: D89A2200 00006014
	ds_write_b64 v20, v[98:99] offset:10880                    // 00000000BD10: D89A2A80 00006214
	ds_write_b64 v20, v[100:101] offset:13056                  // 00000000BD18: D89A3300 00006414
	ds_write_b64 v20, v[102:103] offset:15232                  // 00000000BD20: D89A3B80 00006614
	ds_write_b64 v20, v[104:105] offset:17408                  // 00000000BD28: D89A4400 00006814
	v_lshrrev_b32_e32 v4, 5, v0                                // 00000000BD30: 20080085
	v_xor_b32_e32 v5, 1, v4                                    // 00000000BD34: 2A0A0881
	s_mul_i32 s60, s65, 2                                      // 00000000BD38: 923C8241
	s_cmp_eq_u32 s88, 0                                        // 00000000BD3C: BF068058
	s_cselect_b32 s61, 1, 4                                    // 00000000BD40: 853D8481
	s_mul_i32 s60, s61, s60                                    // 00000000BD44: 923C3C3D
	v_readlane_b32 s82, v3, 0                                  // 00000000BD48: D2890052 00010103
	s_lshr_b32 s61, s82, 24                                    // 00000000BD50: 8F3D9852
	s_and_b32 s82, s82, 0xffffff                               // 00000000BD54: 8652FF52 00FFFFFF
	s_mul_i32 s82, s82, s71                                    // 00000000BD5C: 92524752
	s_mul_i32 s61, s60, s61                                    // 00000000BD60: 923D3D3C
	s_add_u32 s82, s82, s61                                    // 00000000BD64: 80523D52
	v_mul_lo_u32 v6, v5, s82                                   // 00000000BD68: D2850006 0000A505
	v_readlane_b32 s82, v3, 1                                  // 00000000BD70: D2890052 00010303
	s_lshr_b32 s61, s82, 24                                    // 00000000BD78: 8F3D9852
	s_and_b32 s82, s82, 0xffffff                               // 00000000BD7C: 8652FF52 00FFFFFF
	s_mul_i32 s82, s82, s71                                    // 00000000BD84: 92524752
	s_mul_i32 s61, s60, s61                                    // 00000000BD88: 923D3D3C
	s_add_u32 s82, s82, s61                                    // 00000000BD8C: 80523D52
	v_mul_lo_u32 v7, v4, s82                                   // 00000000BD90: D2850007 0000A504
	v_add_u32_e32 v66, v6, v7                                  // 00000000BD98: 68840F06
	v_readlane_b32 s82, v3, 2                                  // 00000000BD9C: D2890052 00010503
	s_lshr_b32 s61, s82, 24                                    // 00000000BDA4: 8F3D9852
	s_and_b32 s82, s82, 0xffffff                               // 00000000BDA8: 8652FF52 00FFFFFF
	s_mul_i32 s82, s82, s71                                    // 00000000BDB0: 92524752
	s_mul_i32 s61, s60, s61                                    // 00000000BDB4: 923D3D3C
	s_add_u32 s82, s82, s61                                    // 00000000BDB8: 80523D52
	v_mul_lo_u32 v6, v5, s82                                   // 00000000BDBC: D2850006 0000A505
	v_readlane_b32 s82, v3, 3                                  // 00000000BDC4: D2890052 00010703
	s_lshr_b32 s61, s82, 24                                    // 00000000BDCC: 8F3D9852
	s_and_b32 s82, s82, 0xffffff                               // 00000000BDD0: 8652FF52 00FFFFFF
	s_mul_i32 s82, s82, s71                                    // 00000000BDD8: 92524752
	s_mul_i32 s61, s60, s61                                    // 00000000BDDC: 923D3D3C
	s_add_u32 s82, s82, s61                                    // 00000000BDE0: 80523D52
	v_mul_lo_u32 v7, v4, s82                                   // 00000000BDE4: D2850007 0000A504
	v_add_u32_e32 v67, v6, v7                                  // 00000000BDEC: 68860F06
	v_readlane_b32 s82, v3, 4                                  // 00000000BDF0: D2890052 00010903
	s_lshr_b32 s61, s82, 24                                    // 00000000BDF8: 8F3D9852
	s_and_b32 s82, s82, 0xffffff                               // 00000000BDFC: 8652FF52 00FFFFFF
	s_mul_i32 s82, s82, s71                                    // 00000000BE04: 92524752
	s_mul_i32 s61, s60, s61                                    // 00000000BE08: 923D3D3C
	s_add_u32 s82, s82, s61                                    // 00000000BE0C: 80523D52
	v_mul_lo_u32 v6, v5, s82                                   // 00000000BE10: D2850006 0000A505
	v_readlane_b32 s82, v3, 5                                  // 00000000BE18: D2890052 00010B03
	s_lshr_b32 s61, s82, 24                                    // 00000000BE20: 8F3D9852
	s_and_b32 s82, s82, 0xffffff                               // 00000000BE24: 8652FF52 00FFFFFF
	s_mul_i32 s82, s82, s71                                    // 00000000BE2C: 92524752
	s_mul_i32 s61, s60, s61                                    // 00000000BE30: 923D3D3C
	s_add_u32 s82, s82, s61                                    // 00000000BE34: 80523D52
	v_mul_lo_u32 v7, v4, s82                                   // 00000000BE38: D2850007 0000A504
	v_add_u32_e32 v68, v6, v7                                  // 00000000BE40: 68880F06
	v_readlane_b32 s82, v3, 6                                  // 00000000BE44: D2890052 00010D03
	s_lshr_b32 s61, s82, 24                                    // 00000000BE4C: 8F3D9852
	s_and_b32 s82, s82, 0xffffff                               // 00000000BE50: 8652FF52 00FFFFFF
	s_mul_i32 s82, s82, s71                                    // 00000000BE58: 92524752
	s_mul_i32 s61, s60, s61                                    // 00000000BE5C: 923D3D3C
	s_add_u32 s82, s82, s61                                    // 00000000BE60: 80523D52
	v_mul_lo_u32 v6, v5, s82                                   // 00000000BE64: D2850006 0000A505
	v_readlane_b32 s82, v3, 7                                  // 00000000BE6C: D2890052 00010F03
	s_lshr_b32 s61, s82, 24                                    // 00000000BE74: 8F3D9852
	s_and_b32 s82, s82, 0xffffff                               // 00000000BE78: 8652FF52 00FFFFFF
	s_mul_i32 s82, s82, s71                                    // 00000000BE80: 92524752
	s_mul_i32 s61, s60, s61                                    // 00000000BE84: 923D3D3C
	s_add_u32 s82, s82, s61                                    // 00000000BE88: 80523D52
	v_mul_lo_u32 v7, v4, s82                                   // 00000000BE8C: D2850007 0000A504
	v_add_u32_e32 v69, v6, v7                                  // 00000000BE94: 688A0F06
	v_readlane_b32 s82, v3, 8                                  // 00000000BE98: D2890052 00011103
	s_lshr_b32 s61, s82, 24                                    // 00000000BEA0: 8F3D9852
	s_and_b32 s82, s82, 0xffffff                               // 00000000BEA4: 8652FF52 00FFFFFF
	s_mul_i32 s82, s82, s71                                    // 00000000BEAC: 92524752
	s_mul_i32 s61, s60, s61                                    // 00000000BEB0: 923D3D3C
	s_add_u32 s82, s82, s61                                    // 00000000BEB4: 80523D52
	v_mul_lo_u32 v6, v5, s82                                   // 00000000BEB8: D2850006 0000A505
	v_readlane_b32 s82, v3, 9                                  // 00000000BEC0: D2890052 00011303
	s_lshr_b32 s61, s82, 24                                    // 00000000BEC8: 8F3D9852
	s_and_b32 s82, s82, 0xffffff                               // 00000000BECC: 8652FF52 00FFFFFF
	s_mul_i32 s82, s82, s71                                    // 00000000BED4: 92524752
	s_mul_i32 s61, s60, s61                                    // 00000000BED8: 923D3D3C
	s_add_u32 s82, s82, s61                                    // 00000000BEDC: 80523D52
	v_mul_lo_u32 v7, v4, s82                                   // 00000000BEE0: D2850007 0000A504
	v_add_u32_e32 v70, v6, v7                                  // 00000000BEE8: 688C0F06
	v_readlane_b32 s82, v3, 10                                 // 00000000BEEC: D2890052 00011503
	s_lshr_b32 s61, s82, 24                                    // 00000000BEF4: 8F3D9852
	s_and_b32 s82, s82, 0xffffff                               // 00000000BEF8: 8652FF52 00FFFFFF
	s_mul_i32 s82, s82, s71                                    // 00000000BF00: 92524752
	s_mul_i32 s61, s60, s61                                    // 00000000BF04: 923D3D3C
	s_add_u32 s82, s82, s61                                    // 00000000BF08: 80523D52
	v_mul_lo_u32 v6, v5, s82                                   // 00000000BF0C: D2850006 0000A505
	v_readlane_b32 s82, v3, 11                                 // 00000000BF14: D2890052 00011703
	s_lshr_b32 s61, s82, 24                                    // 00000000BF1C: 8F3D9852
	s_and_b32 s82, s82, 0xffffff                               // 00000000BF20: 8652FF52 00FFFFFF
	s_mul_i32 s82, s82, s71                                    // 00000000BF28: 92524752
	s_mul_i32 s61, s60, s61                                    // 00000000BF2C: 923D3D3C
	s_add_u32 s82, s82, s61                                    // 00000000BF30: 80523D52
	v_mul_lo_u32 v7, v4, s82                                   // 00000000BF34: D2850007 0000A504
	v_add_u32_e32 v71, v6, v7                                  // 00000000BF3C: 688E0F06
	v_readlane_b32 s82, v3, 12                                 // 00000000BF40: D2890052 00011903
	s_lshr_b32 s61, s82, 24                                    // 00000000BF48: 8F3D9852
	s_and_b32 s82, s82, 0xffffff                               // 00000000BF4C: 8652FF52 00FFFFFF
	s_mul_i32 s82, s82, s71                                    // 00000000BF54: 92524752
	s_mul_i32 s61, s60, s61                                    // 00000000BF58: 923D3D3C
	s_add_u32 s82, s82, s61                                    // 00000000BF5C: 80523D52
	v_mul_lo_u32 v6, v5, s82                                   // 00000000BF60: D2850006 0000A505
	v_readlane_b32 s82, v3, 13                                 // 00000000BF68: D2890052 00011B03
	s_lshr_b32 s61, s82, 24                                    // 00000000BF70: 8F3D9852
	s_and_b32 s82, s82, 0xffffff                               // 00000000BF74: 8652FF52 00FFFFFF
	s_mul_i32 s82, s82, s71                                    // 00000000BF7C: 92524752
	s_mul_i32 s61, s60, s61                                    // 00000000BF80: 923D3D3C
	s_add_u32 s82, s82, s61                                    // 00000000BF84: 80523D52
	v_mul_lo_u32 v7, v4, s82                                   // 00000000BF88: D2850007 0000A504
	v_add_u32_e32 v72, v6, v7                                  // 00000000BF90: 68900F06
	v_readlane_b32 s82, v3, 14                                 // 00000000BF94: D2890052 00011D03
	s_lshr_b32 s61, s82, 24                                    // 00000000BF9C: 8F3D9852
	s_and_b32 s82, s82, 0xffffff                               // 00000000BFA0: 8652FF52 00FFFFFF
	s_mul_i32 s82, s82, s71                                    // 00000000BFA8: 92524752
	s_mul_i32 s61, s60, s61                                    // 00000000BFAC: 923D3D3C
	s_add_u32 s82, s82, s61                                    // 00000000BFB0: 80523D52
	v_mul_lo_u32 v6, v5, s82                                   // 00000000BFB4: D2850006 0000A505
	v_readlane_b32 s82, v3, 15                                 // 00000000BFBC: D2890052 00011F03
	s_lshr_b32 s61, s82, 24                                    // 00000000BFC4: 8F3D9852
	s_and_b32 s82, s82, 0xffffff                               // 00000000BFC8: 8652FF52 00FFFFFF
	s_mul_i32 s82, s82, s71                                    // 00000000BFD0: 92524752
	s_mul_i32 s61, s60, s61                                    // 00000000BFD4: 923D3D3C
	s_add_u32 s82, s82, s61                                    // 00000000BFD8: 80523D52
	v_mul_lo_u32 v7, v4, s82                                   // 00000000BFDC: D2850007 0000A504
	v_add_u32_e32 v73, v6, v7                                  // 00000000BFE4: 68920F06
	v_readlane_b32 s82, v3, 16                                 // 00000000BFE8: D2890052 00012103
	s_lshr_b32 s61, s82, 24                                    // 00000000BFF0: 8F3D9852
	s_and_b32 s82, s82, 0xffffff                               // 00000000BFF4: 8652FF52 00FFFFFF
	s_mul_i32 s82, s82, s71                                    // 00000000BFFC: 92524752
	s_mul_i32 s61, s60, s61                                    // 00000000C000: 923D3D3C
	s_add_u32 s82, s82, s61                                    // 00000000C004: 80523D52
	v_mul_lo_u32 v6, v5, s82                                   // 00000000C008: D2850006 0000A505
	v_readlane_b32 s82, v3, 17                                 // 00000000C010: D2890052 00012303
	s_lshr_b32 s61, s82, 24                                    // 00000000C018: 8F3D9852
	s_and_b32 s82, s82, 0xffffff                               // 00000000C01C: 8652FF52 00FFFFFF
	s_mul_i32 s82, s82, s71                                    // 00000000C024: 92524752
	s_mul_i32 s61, s60, s61                                    // 00000000C028: 923D3D3C
	s_add_u32 s82, s82, s61                                    // 00000000C02C: 80523D52
	v_mul_lo_u32 v7, v4, s82                                   // 00000000C030: D2850007 0000A504
	v_add_u32_e32 v74, v6, v7                                  // 00000000C038: 68940F06
	v_readlane_b32 s82, v3, 18                                 // 00000000C03C: D2890052 00012503
	s_lshr_b32 s61, s82, 24                                    // 00000000C044: 8F3D9852
	s_and_b32 s82, s82, 0xffffff                               // 00000000C048: 8652FF52 00FFFFFF
	s_mul_i32 s82, s82, s71                                    // 00000000C050: 92524752
	s_mul_i32 s61, s60, s61                                    // 00000000C054: 923D3D3C
	s_add_u32 s82, s82, s61                                    // 00000000C058: 80523D52
	v_mul_lo_u32 v6, v5, s82                                   // 00000000C05C: D2850006 0000A505
	v_readlane_b32 s82, v3, 19                                 // 00000000C064: D2890052 00012703
	s_lshr_b32 s61, s82, 24                                    // 00000000C06C: 8F3D9852
	s_and_b32 s82, s82, 0xffffff                               // 00000000C070: 8652FF52 00FFFFFF
	s_mul_i32 s82, s82, s71                                    // 00000000C078: 92524752
	s_mul_i32 s61, s60, s61                                    // 00000000C07C: 923D3D3C
	s_add_u32 s82, s82, s61                                    // 00000000C080: 80523D52
	v_mul_lo_u32 v7, v4, s82                                   // 00000000C084: D2850007 0000A504
	v_add_u32_e32 v75, v6, v7                                  // 00000000C08C: 68960F06
	v_readlane_b32 s82, v3, 20                                 // 00000000C090: D2890052 00012903
	s_lshr_b32 s61, s82, 24                                    // 00000000C098: 8F3D9852
	s_and_b32 s82, s82, 0xffffff                               // 00000000C09C: 8652FF52 00FFFFFF
	s_mul_i32 s82, s82, s71                                    // 00000000C0A4: 92524752
	s_mul_i32 s61, s60, s61                                    // 00000000C0A8: 923D3D3C
	s_add_u32 s82, s82, s61                                    // 00000000C0AC: 80523D52
	v_mul_lo_u32 v6, v5, s82                                   // 00000000C0B0: D2850006 0000A505
	v_readlane_b32 s82, v3, 21                                 // 00000000C0B8: D2890052 00012B03
	s_lshr_b32 s61, s82, 24                                    // 00000000C0C0: 8F3D9852
	s_and_b32 s82, s82, 0xffffff                               // 00000000C0C4: 8652FF52 00FFFFFF
	s_mul_i32 s82, s82, s71                                    // 00000000C0CC: 92524752
	s_mul_i32 s61, s60, s61                                    // 00000000C0D0: 923D3D3C
	s_add_u32 s82, s82, s61                                    // 00000000C0D4: 80523D52
	v_mul_lo_u32 v7, v4, s82                                   // 00000000C0D8: D2850007 0000A504
	v_add_u32_e32 v76, v6, v7                                  // 00000000C0E0: 68980F06
	v_readlane_b32 s82, v3, 22                                 // 00000000C0E4: D2890052 00012D03
	s_lshr_b32 s61, s82, 24                                    // 00000000C0EC: 8F3D9852
	s_and_b32 s82, s82, 0xffffff                               // 00000000C0F0: 8652FF52 00FFFFFF
	s_mul_i32 s82, s82, s71                                    // 00000000C0F8: 92524752
	s_mul_i32 s61, s60, s61                                    // 00000000C0FC: 923D3D3C
	s_add_u32 s82, s82, s61                                    // 00000000C100: 80523D52
	v_mul_lo_u32 v6, v5, s82                                   // 00000000C104: D2850006 0000A505
	v_readlane_b32 s82, v3, 23                                 // 00000000C10C: D2890052 00012F03
	s_lshr_b32 s61, s82, 24                                    // 00000000C114: 8F3D9852
	s_and_b32 s82, s82, 0xffffff                               // 00000000C118: 8652FF52 00FFFFFF
	s_mul_i32 s82, s82, s71                                    // 00000000C120: 92524752
	s_mul_i32 s61, s60, s61                                    // 00000000C124: 923D3D3C
	s_add_u32 s82, s82, s61                                    // 00000000C128: 80523D52
	v_mul_lo_u32 v7, v4, s82                                   // 00000000C12C: D2850007 0000A504
	v_add_u32_e32 v77, v6, v7                                  // 00000000C134: 689A0F06
	v_readlane_b32 s82, v3, 24                                 // 00000000C138: D2890052 00013103
	s_lshr_b32 s61, s82, 24                                    // 00000000C140: 8F3D9852
	s_and_b32 s82, s82, 0xffffff                               // 00000000C144: 8652FF52 00FFFFFF
	s_mul_i32 s82, s82, s71                                    // 00000000C14C: 92524752
	s_mul_i32 s61, s60, s61                                    // 00000000C150: 923D3D3C
	s_add_u32 s82, s82, s61                                    // 00000000C154: 80523D52
	v_mul_lo_u32 v6, v5, s82                                   // 00000000C158: D2850006 0000A505
	v_readlane_b32 s82, v3, 25                                 // 00000000C160: D2890052 00013303
	s_lshr_b32 s61, s82, 24                                    // 00000000C168: 8F3D9852
	s_and_b32 s82, s82, 0xffffff                               // 00000000C16C: 8652FF52 00FFFFFF
	s_mul_i32 s82, s82, s71                                    // 00000000C174: 92524752
	s_mul_i32 s61, s60, s61                                    // 00000000C178: 923D3D3C
	s_add_u32 s82, s82, s61                                    // 00000000C17C: 80523D52
	v_mul_lo_u32 v7, v4, s82                                   // 00000000C180: D2850007 0000A504
	v_add_u32_e32 v78, v6, v7                                  // 00000000C188: 689C0F06
	v_readlane_b32 s82, v3, 26                                 // 00000000C18C: D2890052 00013503
	s_lshr_b32 s61, s82, 24                                    // 00000000C194: 8F3D9852
	s_and_b32 s82, s82, 0xffffff                               // 00000000C198: 8652FF52 00FFFFFF
	s_mul_i32 s82, s82, s71                                    // 00000000C1A0: 92524752
	s_mul_i32 s61, s60, s61                                    // 00000000C1A4: 923D3D3C
	s_add_u32 s82, s82, s61                                    // 00000000C1A8: 80523D52
	v_mul_lo_u32 v6, v5, s82                                   // 00000000C1AC: D2850006 0000A505
	v_readlane_b32 s82, v3, 27                                 // 00000000C1B4: D2890052 00013703
	s_lshr_b32 s61, s82, 24                                    // 00000000C1BC: 8F3D9852
	s_and_b32 s82, s82, 0xffffff                               // 00000000C1C0: 8652FF52 00FFFFFF
	s_mul_i32 s82, s82, s71                                    // 00000000C1C8: 92524752
	s_mul_i32 s61, s60, s61                                    // 00000000C1CC: 923D3D3C
	s_add_u32 s82, s82, s61                                    // 00000000C1D0: 80523D52
	v_mul_lo_u32 v7, v4, s82                                   // 00000000C1D4: D2850007 0000A504
	v_add_u32_e32 v79, v6, v7                                  // 00000000C1DC: 689E0F06
	v_readlane_b32 s82, v3, 28                                 // 00000000C1E0: D2890052 00013903
	s_lshr_b32 s61, s82, 24                                    // 00000000C1E8: 8F3D9852
	s_and_b32 s82, s82, 0xffffff                               // 00000000C1EC: 8652FF52 00FFFFFF
	s_mul_i32 s82, s82, s71                                    // 00000000C1F4: 92524752
	s_mul_i32 s61, s60, s61                                    // 00000000C1F8: 923D3D3C
	s_add_u32 s82, s82, s61                                    // 00000000C1FC: 80523D52
	v_mul_lo_u32 v6, v5, s82                                   // 00000000C200: D2850006 0000A505
	v_readlane_b32 s82, v3, 29                                 // 00000000C208: D2890052 00013B03
	s_lshr_b32 s61, s82, 24                                    // 00000000C210: 8F3D9852
	s_and_b32 s82, s82, 0xffffff                               // 00000000C214: 8652FF52 00FFFFFF
	s_mul_i32 s82, s82, s71                                    // 00000000C21C: 92524752
	s_mul_i32 s61, s60, s61                                    // 00000000C220: 923D3D3C
	s_add_u32 s82, s82, s61                                    // 00000000C224: 80523D52
	v_mul_lo_u32 v7, v4, s82                                   // 00000000C228: D2850007 0000A504
	v_add_u32_e32 v80, v6, v7                                  // 00000000C230: 68A00F06
	v_readlane_b32 s82, v3, 30                                 // 00000000C234: D2890052 00013D03
	s_lshr_b32 s61, s82, 24                                    // 00000000C23C: 8F3D9852
	s_and_b32 s82, s82, 0xffffff                               // 00000000C240: 8652FF52 00FFFFFF
	s_mul_i32 s82, s82, s71                                    // 00000000C248: 92524752
	s_mul_i32 s61, s60, s61                                    // 00000000C24C: 923D3D3C
	s_add_u32 s82, s82, s61                                    // 00000000C250: 80523D52
	v_mul_lo_u32 v6, v5, s82                                   // 00000000C254: D2850006 0000A505
	v_readlane_b32 s82, v3, 31                                 // 00000000C25C: D2890052 00013F03
	s_lshr_b32 s61, s82, 24                                    // 00000000C264: 8F3D9852
	s_and_b32 s82, s82, 0xffffff                               // 00000000C268: 8652FF52 00FFFFFF
	s_mul_i32 s82, s82, s71                                    // 00000000C270: 92524752
	s_mul_i32 s61, s60, s61                                    // 00000000C274: 923D3D3C
	s_add_u32 s82, s82, s61                                    // 00000000C278: 80523D52
	v_mul_lo_u32 v7, v4, s82                                   // 00000000C27C: D2850007 0000A504
	v_add_u32_e32 v81, v6, v7                                  // 00000000C284: 68A20F06
	v_readlane_b32 s82, v3, 32                                 // 00000000C288: D2890052 00014103
	s_lshr_b32 s61, s82, 24                                    // 00000000C290: 8F3D9852
	s_and_b32 s82, s82, 0xffffff                               // 00000000C294: 8652FF52 00FFFFFF
	s_mul_i32 s82, s82, s71                                    // 00000000C29C: 92524752
	s_mul_i32 s61, s60, s61                                    // 00000000C2A0: 923D3D3C
	s_add_u32 s82, s82, s61                                    // 00000000C2A4: 80523D52
	v_mul_lo_u32 v6, v5, s82                                   // 00000000C2A8: D2850006 0000A505
	v_readlane_b32 s82, v3, 33                                 // 00000000C2B0: D2890052 00014303
	s_lshr_b32 s61, s82, 24                                    // 00000000C2B8: 8F3D9852
	s_and_b32 s82, s82, 0xffffff                               // 00000000C2BC: 8652FF52 00FFFFFF
	s_mul_i32 s82, s82, s71                                    // 00000000C2C4: 92524752
	s_mul_i32 s61, s60, s61                                    // 00000000C2C8: 923D3D3C
	s_add_u32 s82, s82, s61                                    // 00000000C2CC: 80523D52
	v_mul_lo_u32 v7, v4, s82                                   // 00000000C2D0: D2850007 0000A504
	v_add_u32_e32 v82, v6, v7                                  // 00000000C2D8: 68A40F06
	v_readlane_b32 s82, v3, 34                                 // 00000000C2DC: D2890052 00014503
	s_lshr_b32 s61, s82, 24                                    // 00000000C2E4: 8F3D9852
	s_and_b32 s82, s82, 0xffffff                               // 00000000C2E8: 8652FF52 00FFFFFF
	s_mul_i32 s82, s82, s71                                    // 00000000C2F0: 92524752
	s_mul_i32 s61, s60, s61                                    // 00000000C2F4: 923D3D3C
	s_add_u32 s82, s82, s61                                    // 00000000C2F8: 80523D52
	v_mul_lo_u32 v6, v5, s82                                   // 00000000C2FC: D2850006 0000A505
	v_readlane_b32 s82, v3, 35                                 // 00000000C304: D2890052 00014703
	s_lshr_b32 s61, s82, 24                                    // 00000000C30C: 8F3D9852
	s_and_b32 s82, s82, 0xffffff                               // 00000000C310: 8652FF52 00FFFFFF
	s_mul_i32 s82, s82, s71                                    // 00000000C318: 92524752
	s_mul_i32 s61, s60, s61                                    // 00000000C31C: 923D3D3C
	s_add_u32 s82, s82, s61                                    // 00000000C320: 80523D52
	v_mul_lo_u32 v7, v4, s82                                   // 00000000C324: D2850007 0000A504
	v_add_u32_e32 v83, v6, v7                                  // 00000000C32C: 68A60F06
	v_and_b32_e32 v4, 31, v0                                   // 00000000C330: 2608009F
	v_lshrrev_b32_e32 v4, 1, v4                                // 00000000C334: 20080881
	s_cmp_eq_u32 s88, 0                                        // 00000000C338: BF068058
	s_cselect_b32 s61, 2, 4                                    // 00000000C33C: 853D8482
	v_mul_lo_u32 v4, v4, s61                                   // 00000000C340: D2850004 00007B04
	v_and_b32_e64 v5, v0, 1                                    // 00000000C348: D1130005 00010300
	v_add_u32_e32 v4, v4, v5                                   // 00000000C350: 68080B04
	v_lshlrev_b32_e32 v4, 2, v4                                // 00000000C354: 24080882
	v_add_u32_e32 v66, v66, v4                                 // 00000000C358: 68840942
	v_add_u32_e32 v67, v67, v4                                 // 00000000C35C: 68860943
	v_add_u32_e32 v68, v68, v4                                 // 00000000C360: 68880944
	v_add_u32_e32 v69, v69, v4                                 // 00000000C364: 688A0945
	v_add_u32_e32 v70, v70, v4                                 // 00000000C368: 688C0946
	v_add_u32_e32 v71, v71, v4                                 // 00000000C36C: 688E0947
	v_add_u32_e32 v72, v72, v4                                 // 00000000C370: 68900948
	v_add_u32_e32 v73, v73, v4                                 // 00000000C374: 68920949
	v_add_u32_e32 v74, v74, v4                                 // 00000000C378: 6894094A
	v_add_u32_e32 v75, v75, v4                                 // 00000000C37C: 6896094B
	v_add_u32_e32 v76, v76, v4                                 // 00000000C380: 6898094C
	v_add_u32_e32 v77, v77, v4                                 // 00000000C384: 689A094D
	v_add_u32_e32 v78, v78, v4                                 // 00000000C388: 689C094E
	v_add_u32_e32 v79, v79, v4                                 // 00000000C38C: 689E094F
	v_add_u32_e32 v80, v80, v4                                 // 00000000C390: 68A00950
	v_add_u32_e32 v81, v81, v4                                 // 00000000C394: 68A20951
	v_add_u32_e32 v82, v82, v4                                 // 00000000C398: 68A40952
	v_add_u32_e32 v83, v83, v4                                 // 00000000C39C: 68A60953
	s_waitcnt lgkmcnt(0)                                       // 00000000C3A0: BF8CC07F
	s_barrier                                                  // 00000000C3A4: BF8A0000
	ds_read_b32 v88, v21                                       // 00000000C3A8: D86C0000 58000015
	ds_read_b32 v89, v21 offset:64                             // 00000000C3B0: D86C0040 59000015
	ds_read_b32 v90, v21 offset:2176                           // 00000000C3B8: D86C0880 5A000015
	ds_read_b32 v91, v21 offset:2240                           // 00000000C3C0: D86C08C0 5B000015
	ds_read_b32 v92, v21 offset:4352                           // 00000000C3C8: D86C1100 5C000015
	ds_read_b32 v93, v21 offset:4416                           // 00000000C3D0: D86C1140 5D000015
	ds_read_b32 v94, v21 offset:6528                           // 00000000C3D8: D86C1980 5E000015
	ds_read_b32 v95, v21 offset:6592                           // 00000000C3E0: D86C19C0 5F000015
	ds_read_b32 v96, v21 offset:8704                           // 00000000C3E8: D86C2200 60000015
	ds_read_b32 v97, v21 offset:8768                           // 00000000C3F0: D86C2240 61000015
	ds_read_b32 v98, v21 offset:10880                          // 00000000C3F8: D86C2A80 62000015
	ds_read_b32 v99, v21 offset:10944                          // 00000000C400: D86C2AC0 63000015
	ds_read_b32 v100, v21 offset:13056                         // 00000000C408: D86C3300 64000015
	ds_read_b32 v101, v21 offset:13120                         // 00000000C410: D86C3340 65000015
	ds_read_b32 v102, v21 offset:15232                         // 00000000C418: D86C3B80 66000015
	ds_read_b32 v103, v21 offset:15296                         // 00000000C420: D86C3BC0 67000015
	ds_read_b32 v104, v21 offset:17408                         // 00000000C428: D86C4400 68000015
	ds_read_b32 v105, v21 offset:17472                         // 00000000C430: D86C4440 69000015
	s_waitcnt lgkmcnt(0)                                       // 00000000C438: BF8CC07F
	s_mov_b32 s36, -1                                          // 00000000C43C: BEA400C1
	s_mov_b32 s37, -1                                          // 00000000C440: BEA500C1
	v_mov_b32_e32 v7, 0                                        // 00000000C444: 7E0E0280
	s_or_b32 s9, s9, 0x40000                                   // 00000000C448: 8709FF09 00040000
	s_mov_b64 exec, s[36:37]                                   // 00000000C450: BEFE0124
	v_mov_b32_e32 v6, v66                                      // 00000000C454: 7E0C0342
	s_mov_b64 s[60:61], 0                                      // 00000000C458: BEBC0180
	v_readlane_b32 s82, v3, 0                                  // 00000000C45C: D2890052 00010103
	s_and_b32 s82, s82, 0xffffff                               // 00000000C464: 8652FF52 00FFFFFF
	s_cmp_lt_u32 s82, s66                                      // 00000000C46C: BF0A4252
	s_cselect_b32 s20, s36, s60                                // 00000000C470: 85143C24
	v_readlane_b32 s82, v3, 1                                  // 00000000C474: D2890052 00010303
	s_and_b32 s82, s82, 0xffffff                               // 00000000C47C: 8652FF52 00FFFFFF
	s_cmp_lt_u32 s82, s66                                      // 00000000C484: BF0A4252
	s_cselect_b32 s21, s36, s60                                // 00000000C488: 85153C24
	s_mov_b64 exec, s[20:21]                                   // 00000000C48C: BEFE0114
	buffer_store_dword v88, v6, s[8:11], 0 offen               // 00000000C490: E0701000 80025806
	s_mov_b64 exec, s[36:37]                                   // 00000000C498: BEFE0124
	v_mov_b32_e32 v6, v67                                      // 00000000C49C: 7E0C0343
	s_mov_b64 s[60:61], 0                                      // 00000000C4A0: BEBC0180
	v_readlane_b32 s82, v3, 2                                  // 00000000C4A4: D2890052 00010503
	s_and_b32 s82, s82, 0xffffff                               // 00000000C4AC: 8652FF52 00FFFFFF
	s_cmp_lt_u32 s82, s66                                      // 00000000C4B4: BF0A4252
	s_cselect_b32 s20, s36, s60                                // 00000000C4B8: 85143C24
	v_readlane_b32 s82, v3, 3                                  // 00000000C4BC: D2890052 00010703
	s_and_b32 s82, s82, 0xffffff                               // 00000000C4C4: 8652FF52 00FFFFFF
	s_cmp_lt_u32 s82, s66                                      // 00000000C4CC: BF0A4252
	s_cselect_b32 s21, s36, s60                                // 00000000C4D0: 85153C24
	s_mov_b64 exec, s[20:21]                                   // 00000000C4D4: BEFE0114
	buffer_store_dword v89, v6, s[8:11], 0 offen               // 00000000C4D8: E0701000 80025906
	s_mov_b64 exec, s[36:37]                                   // 00000000C4E0: BEFE0124
	v_mov_b32_e32 v6, v68                                      // 00000000C4E4: 7E0C0344
	s_mov_b64 s[60:61], 0                                      // 00000000C4E8: BEBC0180
	v_readlane_b32 s82, v3, 4                                  // 00000000C4EC: D2890052 00010903
	s_and_b32 s82, s82, 0xffffff                               // 00000000C4F4: 8652FF52 00FFFFFF
	s_cmp_lt_u32 s82, s66                                      // 00000000C4FC: BF0A4252
	s_cselect_b32 s20, s36, s60                                // 00000000C500: 85143C24
	v_readlane_b32 s82, v3, 5                                  // 00000000C504: D2890052 00010B03
	s_and_b32 s82, s82, 0xffffff                               // 00000000C50C: 8652FF52 00FFFFFF
	s_cmp_lt_u32 s82, s66                                      // 00000000C514: BF0A4252
	s_cselect_b32 s21, s36, s60                                // 00000000C518: 85153C24
	s_mov_b64 exec, s[20:21]                                   // 00000000C51C: BEFE0114
	buffer_store_dword v90, v6, s[8:11], 0 offen               // 00000000C520: E0701000 80025A06
	s_mov_b64 exec, s[36:37]                                   // 00000000C528: BEFE0124
	v_mov_b32_e32 v6, v69                                      // 00000000C52C: 7E0C0345
	s_mov_b64 s[60:61], 0                                      // 00000000C530: BEBC0180
	v_readlane_b32 s82, v3, 6                                  // 00000000C534: D2890052 00010D03
	s_and_b32 s82, s82, 0xffffff                               // 00000000C53C: 8652FF52 00FFFFFF
	s_cmp_lt_u32 s82, s66                                      // 00000000C544: BF0A4252
	s_cselect_b32 s20, s36, s60                                // 00000000C548: 85143C24
	v_readlane_b32 s82, v3, 7                                  // 00000000C54C: D2890052 00010F03
	s_and_b32 s82, s82, 0xffffff                               // 00000000C554: 8652FF52 00FFFFFF
	s_cmp_lt_u32 s82, s66                                      // 00000000C55C: BF0A4252
	s_cselect_b32 s21, s36, s60                                // 00000000C560: 85153C24
	s_mov_b64 exec, s[20:21]                                   // 00000000C564: BEFE0114
	buffer_store_dword v91, v6, s[8:11], 0 offen               // 00000000C568: E0701000 80025B06
	s_mov_b64 exec, s[36:37]                                   // 00000000C570: BEFE0124
	v_mov_b32_e32 v6, v70                                      // 00000000C574: 7E0C0346
	s_mov_b64 s[60:61], 0                                      // 00000000C578: BEBC0180
	v_readlane_b32 s82, v3, 8                                  // 00000000C57C: D2890052 00011103
	s_and_b32 s82, s82, 0xffffff                               // 00000000C584: 8652FF52 00FFFFFF
	s_cmp_lt_u32 s82, s66                                      // 00000000C58C: BF0A4252
	s_cselect_b32 s20, s36, s60                                // 00000000C590: 85143C24
	v_readlane_b32 s82, v3, 9                                  // 00000000C594: D2890052 00011303
	s_and_b32 s82, s82, 0xffffff                               // 00000000C59C: 8652FF52 00FFFFFF
	s_cmp_lt_u32 s82, s66                                      // 00000000C5A4: BF0A4252
	s_cselect_b32 s21, s36, s60                                // 00000000C5A8: 85153C24
	s_mov_b64 exec, s[20:21]                                   // 00000000C5AC: BEFE0114
	buffer_store_dword v92, v6, s[8:11], 0 offen               // 00000000C5B0: E0701000 80025C06
	s_mov_b64 exec, s[36:37]                                   // 00000000C5B8: BEFE0124
	v_mov_b32_e32 v6, v71                                      // 00000000C5BC: 7E0C0347
	s_mov_b64 s[60:61], 0                                      // 00000000C5C0: BEBC0180
	v_readlane_b32 s82, v3, 10                                 // 00000000C5C4: D2890052 00011503
	s_and_b32 s82, s82, 0xffffff                               // 00000000C5CC: 8652FF52 00FFFFFF
	s_cmp_lt_u32 s82, s66                                      // 00000000C5D4: BF0A4252
	s_cselect_b32 s20, s36, s60                                // 00000000C5D8: 85143C24
	v_readlane_b32 s82, v3, 11                                 // 00000000C5DC: D2890052 00011703
	s_and_b32 s82, s82, 0xffffff                               // 00000000C5E4: 8652FF52 00FFFFFF
	s_cmp_lt_u32 s82, s66                                      // 00000000C5EC: BF0A4252
	s_cselect_b32 s21, s36, s60                                // 00000000C5F0: 85153C24
	s_mov_b64 exec, s[20:21]                                   // 00000000C5F4: BEFE0114
	buffer_store_dword v93, v6, s[8:11], 0 offen               // 00000000C5F8: E0701000 80025D06
	s_mov_b64 exec, s[36:37]                                   // 00000000C600: BEFE0124
	v_mov_b32_e32 v6, v72                                      // 00000000C604: 7E0C0348
	s_mov_b64 s[60:61], 0                                      // 00000000C608: BEBC0180
	v_readlane_b32 s82, v3, 12                                 // 00000000C60C: D2890052 00011903
	s_and_b32 s82, s82, 0xffffff                               // 00000000C614: 8652FF52 00FFFFFF
	s_cmp_lt_u32 s82, s66                                      // 00000000C61C: BF0A4252
	s_cselect_b32 s20, s36, s60                                // 00000000C620: 85143C24
	v_readlane_b32 s82, v3, 13                                 // 00000000C624: D2890052 00011B03
	s_and_b32 s82, s82, 0xffffff                               // 00000000C62C: 8652FF52 00FFFFFF
	s_cmp_lt_u32 s82, s66                                      // 00000000C634: BF0A4252
	s_cselect_b32 s21, s36, s60                                // 00000000C638: 85153C24
	s_mov_b64 exec, s[20:21]                                   // 00000000C63C: BEFE0114
	buffer_store_dword v94, v6, s[8:11], 0 offen               // 00000000C640: E0701000 80025E06
	s_mov_b64 exec, s[36:37]                                   // 00000000C648: BEFE0124
	v_mov_b32_e32 v6, v73                                      // 00000000C64C: 7E0C0349
	s_mov_b64 s[60:61], 0                                      // 00000000C650: BEBC0180
	v_readlane_b32 s82, v3, 14                                 // 00000000C654: D2890052 00011D03
	s_and_b32 s82, s82, 0xffffff                               // 00000000C65C: 8652FF52 00FFFFFF
	s_cmp_lt_u32 s82, s66                                      // 00000000C664: BF0A4252
	s_cselect_b32 s20, s36, s60                                // 00000000C668: 85143C24
	v_readlane_b32 s82, v3, 15                                 // 00000000C66C: D2890052 00011F03
	s_and_b32 s82, s82, 0xffffff                               // 00000000C674: 8652FF52 00FFFFFF
	s_cmp_lt_u32 s82, s66                                      // 00000000C67C: BF0A4252
	s_cselect_b32 s21, s36, s60                                // 00000000C680: 85153C24
	s_mov_b64 exec, s[20:21]                                   // 00000000C684: BEFE0114
	buffer_store_dword v95, v6, s[8:11], 0 offen               // 00000000C688: E0701000 80025F06
	s_mov_b64 exec, s[36:37]                                   // 00000000C690: BEFE0124
	v_mov_b32_e32 v6, v74                                      // 00000000C694: 7E0C034A
	s_mov_b64 s[60:61], 0                                      // 00000000C698: BEBC0180
	v_readlane_b32 s82, v3, 16                                 // 00000000C69C: D2890052 00012103
	s_and_b32 s82, s82, 0xffffff                               // 00000000C6A4: 8652FF52 00FFFFFF
	s_cmp_lt_u32 s82, s66                                      // 00000000C6AC: BF0A4252
	s_cselect_b32 s20, s36, s60                                // 00000000C6B0: 85143C24
	v_readlane_b32 s82, v3, 17                                 // 00000000C6B4: D2890052 00012303
	s_and_b32 s82, s82, 0xffffff                               // 00000000C6BC: 8652FF52 00FFFFFF
	s_cmp_lt_u32 s82, s66                                      // 00000000C6C4: BF0A4252
	s_cselect_b32 s21, s36, s60                                // 00000000C6C8: 85153C24
	s_mov_b64 exec, s[20:21]                                   // 00000000C6CC: BEFE0114
	buffer_store_dword v96, v6, s[8:11], 0 offen               // 00000000C6D0: E0701000 80026006
	s_mov_b64 exec, s[36:37]                                   // 00000000C6D8: BEFE0124
	v_mov_b32_e32 v6, v75                                      // 00000000C6DC: 7E0C034B
	s_mov_b64 s[60:61], 0                                      // 00000000C6E0: BEBC0180
	v_readlane_b32 s82, v3, 18                                 // 00000000C6E4: D2890052 00012503
	s_and_b32 s82, s82, 0xffffff                               // 00000000C6EC: 8652FF52 00FFFFFF
	s_cmp_lt_u32 s82, s66                                      // 00000000C6F4: BF0A4252
	s_cselect_b32 s20, s36, s60                                // 00000000C6F8: 85143C24
	v_readlane_b32 s82, v3, 19                                 // 00000000C6FC: D2890052 00012703
	s_and_b32 s82, s82, 0xffffff                               // 00000000C704: 8652FF52 00FFFFFF
	s_cmp_lt_u32 s82, s66                                      // 00000000C70C: BF0A4252
	s_cselect_b32 s21, s36, s60                                // 00000000C710: 85153C24
	s_mov_b64 exec, s[20:21]                                   // 00000000C714: BEFE0114
	buffer_store_dword v97, v6, s[8:11], 0 offen               // 00000000C718: E0701000 80026106
	s_mov_b64 exec, s[36:37]                                   // 00000000C720: BEFE0124
	v_mov_b32_e32 v6, v76                                      // 00000000C724: 7E0C034C
	s_mov_b64 s[60:61], 0                                      // 00000000C728: BEBC0180
	v_readlane_b32 s82, v3, 20                                 // 00000000C72C: D2890052 00012903
	s_and_b32 s82, s82, 0xffffff                               // 00000000C734: 8652FF52 00FFFFFF
	s_cmp_lt_u32 s82, s66                                      // 00000000C73C: BF0A4252
	s_cselect_b32 s20, s36, s60                                // 00000000C740: 85143C24
	v_readlane_b32 s82, v3, 21                                 // 00000000C744: D2890052 00012B03
	s_and_b32 s82, s82, 0xffffff                               // 00000000C74C: 8652FF52 00FFFFFF
	s_cmp_lt_u32 s82, s66                                      // 00000000C754: BF0A4252
	s_cselect_b32 s21, s36, s60                                // 00000000C758: 85153C24
	s_mov_b64 exec, s[20:21]                                   // 00000000C75C: BEFE0114
	buffer_store_dword v98, v6, s[8:11], 0 offen               // 00000000C760: E0701000 80026206
	s_mov_b64 exec, s[36:37]                                   // 00000000C768: BEFE0124
	v_mov_b32_e32 v6, v77                                      // 00000000C76C: 7E0C034D
	s_mov_b64 s[60:61], 0                                      // 00000000C770: BEBC0180
	v_readlane_b32 s82, v3, 22                                 // 00000000C774: D2890052 00012D03
	s_and_b32 s82, s82, 0xffffff                               // 00000000C77C: 8652FF52 00FFFFFF
	s_cmp_lt_u32 s82, s66                                      // 00000000C784: BF0A4252
	s_cselect_b32 s20, s36, s60                                // 00000000C788: 85143C24
	v_readlane_b32 s82, v3, 23                                 // 00000000C78C: D2890052 00012F03
	s_and_b32 s82, s82, 0xffffff                               // 00000000C794: 8652FF52 00FFFFFF
	s_cmp_lt_u32 s82, s66                                      // 00000000C79C: BF0A4252
	s_cselect_b32 s21, s36, s60                                // 00000000C7A0: 85153C24
	s_mov_b64 exec, s[20:21]                                   // 00000000C7A4: BEFE0114
	buffer_store_dword v99, v6, s[8:11], 0 offen               // 00000000C7A8: E0701000 80026306
	s_mov_b64 exec, s[36:37]                                   // 00000000C7B0: BEFE0124
	v_mov_b32_e32 v6, v78                                      // 00000000C7B4: 7E0C034E
	s_mov_b64 s[60:61], 0                                      // 00000000C7B8: BEBC0180
	v_readlane_b32 s82, v3, 24                                 // 00000000C7BC: D2890052 00013103
	s_and_b32 s82, s82, 0xffffff                               // 00000000C7C4: 8652FF52 00FFFFFF
	s_cmp_lt_u32 s82, s66                                      // 00000000C7CC: BF0A4252
	s_cselect_b32 s20, s36, s60                                // 00000000C7D0: 85143C24
	v_readlane_b32 s82, v3, 25                                 // 00000000C7D4: D2890052 00013303
	s_and_b32 s82, s82, 0xffffff                               // 00000000C7DC: 8652FF52 00FFFFFF
	s_cmp_lt_u32 s82, s66                                      // 00000000C7E4: BF0A4252
	s_cselect_b32 s21, s36, s60                                // 00000000C7E8: 85153C24
	s_mov_b64 exec, s[20:21]                                   // 00000000C7EC: BEFE0114
	buffer_store_dword v100, v6, s[8:11], 0 offen              // 00000000C7F0: E0701000 80026406
	s_mov_b64 exec, s[36:37]                                   // 00000000C7F8: BEFE0124
	v_mov_b32_e32 v6, v79                                      // 00000000C7FC: 7E0C034F
	s_mov_b64 s[60:61], 0                                      // 00000000C800: BEBC0180
	v_readlane_b32 s82, v3, 26                                 // 00000000C804: D2890052 00013503
	s_and_b32 s82, s82, 0xffffff                               // 00000000C80C: 8652FF52 00FFFFFF
	s_cmp_lt_u32 s82, s66                                      // 00000000C814: BF0A4252
	s_cselect_b32 s20, s36, s60                                // 00000000C818: 85143C24
	v_readlane_b32 s82, v3, 27                                 // 00000000C81C: D2890052 00013703
	s_and_b32 s82, s82, 0xffffff                               // 00000000C824: 8652FF52 00FFFFFF
	s_cmp_lt_u32 s82, s66                                      // 00000000C82C: BF0A4252
	s_cselect_b32 s21, s36, s60                                // 00000000C830: 85153C24
	s_mov_b64 exec, s[20:21]                                   // 00000000C834: BEFE0114
	buffer_store_dword v101, v6, s[8:11], 0 offen              // 00000000C838: E0701000 80026506
	s_mov_b64 exec, s[36:37]                                   // 00000000C840: BEFE0124
	v_mov_b32_e32 v6, v80                                      // 00000000C844: 7E0C0350
	s_mov_b64 s[60:61], 0                                      // 00000000C848: BEBC0180
	v_readlane_b32 s82, v3, 28                                 // 00000000C84C: D2890052 00013903
	s_and_b32 s82, s82, 0xffffff                               // 00000000C854: 8652FF52 00FFFFFF
	s_cmp_lt_u32 s82, s66                                      // 00000000C85C: BF0A4252
	s_cselect_b32 s20, s36, s60                                // 00000000C860: 85143C24
	v_readlane_b32 s82, v3, 29                                 // 00000000C864: D2890052 00013B03
	s_and_b32 s82, s82, 0xffffff                               // 00000000C86C: 8652FF52 00FFFFFF
	s_cmp_lt_u32 s82, s66                                      // 00000000C874: BF0A4252
	s_cselect_b32 s21, s36, s60                                // 00000000C878: 85153C24
	s_mov_b64 exec, s[20:21]                                   // 00000000C87C: BEFE0114
	buffer_store_dword v102, v6, s[8:11], 0 offen              // 00000000C880: E0701000 80026606
	s_mov_b64 exec, s[36:37]                                   // 00000000C888: BEFE0124
	v_mov_b32_e32 v6, v81                                      // 00000000C88C: 7E0C0351
	s_mov_b64 s[60:61], 0                                      // 00000000C890: BEBC0180
	v_readlane_b32 s82, v3, 30                                 // 00000000C894: D2890052 00013D03
	s_and_b32 s82, s82, 0xffffff                               // 00000000C89C: 8652FF52 00FFFFFF
	s_cmp_lt_u32 s82, s66                                      // 00000000C8A4: BF0A4252
	s_cselect_b32 s20, s36, s60                                // 00000000C8A8: 85143C24
	v_readlane_b32 s82, v3, 31                                 // 00000000C8AC: D2890052 00013F03
	s_and_b32 s82, s82, 0xffffff                               // 00000000C8B4: 8652FF52 00FFFFFF
	s_cmp_lt_u32 s82, s66                                      // 00000000C8BC: BF0A4252
	s_cselect_b32 s21, s36, s60                                // 00000000C8C0: 85153C24
	s_mov_b64 exec, s[20:21]                                   // 00000000C8C4: BEFE0114
	buffer_store_dword v103, v6, s[8:11], 0 offen              // 00000000C8C8: E0701000 80026706
	s_mov_b64 exec, s[36:37]                                   // 00000000C8D0: BEFE0124
	v_mov_b32_e32 v6, v82                                      // 00000000C8D4: 7E0C0352
	s_mov_b64 s[60:61], 0                                      // 00000000C8D8: BEBC0180
	v_readlane_b32 s82, v3, 32                                 // 00000000C8DC: D2890052 00014103
	s_and_b32 s82, s82, 0xffffff                               // 00000000C8E4: 8652FF52 00FFFFFF
	s_cmp_lt_u32 s82, s66                                      // 00000000C8EC: BF0A4252
	s_cselect_b32 s20, s36, s60                                // 00000000C8F0: 85143C24
	v_readlane_b32 s82, v3, 33                                 // 00000000C8F4: D2890052 00014303
	s_and_b32 s82, s82, 0xffffff                               // 00000000C8FC: 8652FF52 00FFFFFF
	s_cmp_lt_u32 s82, s66                                      // 00000000C904: BF0A4252
	s_cselect_b32 s21, s36, s60                                // 00000000C908: 85153C24
	s_mov_b64 exec, s[20:21]                                   // 00000000C90C: BEFE0114
	buffer_store_dword v104, v6, s[8:11], 0 offen              // 00000000C910: E0701000 80026806
	s_mov_b64 exec, s[36:37]                                   // 00000000C918: BEFE0124
	v_mov_b32_e32 v6, v83                                      // 00000000C91C: 7E0C0353
	s_mov_b64 s[60:61], 0                                      // 00000000C920: BEBC0180
	v_readlane_b32 s82, v3, 34                                 // 00000000C924: D2890052 00014503
	s_and_b32 s82, s82, 0xffffff                               // 00000000C92C: 8652FF52 00FFFFFF
	s_cmp_lt_u32 s82, s66                                      // 00000000C934: BF0A4252
	s_cselect_b32 s20, s36, s60                                // 00000000C938: 85143C24
	v_readlane_b32 s82, v3, 35                                 // 00000000C93C: D2890052 00014703
	s_and_b32 s82, s82, 0xffffff                               // 00000000C944: 8652FF52 00FFFFFF
	s_cmp_lt_u32 s82, s66                                      // 00000000C94C: BF0A4252
	s_cselect_b32 s21, s36, s60                                // 00000000C950: 85153C24
	s_mov_b64 exec, s[20:21]                                   // 00000000C954: BEFE0114
	buffer_store_dword v105, v6, s[8:11], 0 offen              // 00000000C958: E0701000 80026906
	s_mov_b64 exec, s[36:37]                                   // 00000000C960: BEFE0124
	s_branch label_2F7B                                        // 00000000C964: BF82079E

000000000000c968 <label_27DD>:
	ds_write_b64 v20, v[88:89]                                 // 00000000C968: D89A0000 00005814
	ds_write_b64 v20, v[92:93] offset:2176                     // 00000000C970: D89A0880 00005C14
	ds_write_b64 v20, v[96:97] offset:4352                     // 00000000C978: D89A1100 00006014
	ds_write_b64 v20, v[100:101] offset:6528                   // 00000000C980: D89A1980 00006414
	ds_write_b64 v20, v[104:105] offset:8704                   // 00000000C988: D89A2200 00006814
	ds_write_b64 v20, v[108:109] offset:10880                  // 00000000C990: D89A2A80 00006C14
	ds_write_b64 v20, v[112:113] offset:13056                  // 00000000C998: D89A3300 00007014
	ds_write_b64 v20, v[116:117] offset:15232                  // 00000000C9A0: D89A3B80 00007414
	ds_write_b64 v20, v[120:121] offset:17408                  // 00000000C9A8: D89A4400 00007814
	v_lshrrev_b32_e32 v4, 5, v0                                // 00000000C9B0: 20080085
	v_xor_b32_e32 v5, 1, v4                                    // 00000000C9B4: 2A0A0881
	s_mul_i32 s60, s65, 2                                      // 00000000C9B8: 923C8241
	s_cmp_eq_u32 s88, 0                                        // 00000000C9BC: BF068058
	s_cselect_b32 s61, 1, 4                                    // 00000000C9C0: 853D8481
	s_mul_i32 s60, s61, s60                                    // 00000000C9C4: 923C3C3D
	v_readlane_b32 s82, v3, 0                                  // 00000000C9C8: D2890052 00010103
	s_lshr_b32 s61, s82, 24                                    // 00000000C9D0: 8F3D9852
	s_and_b32 s82, s82, 0xffffff                               // 00000000C9D4: 8652FF52 00FFFFFF
	s_mul_i32 s82, s82, s71                                    // 00000000C9DC: 92524752
	s_mul_i32 s61, s60, s61                                    // 00000000C9E0: 923D3D3C
	s_add_u32 s82, s82, s61                                    // 00000000C9E4: 80523D52
	v_mul_lo_u32 v6, v5, s82                                   // 00000000C9E8: D2850006 0000A505
	v_readlane_b32 s82, v3, 1                                  // 00000000C9F0: D2890052 00010303
	s_lshr_b32 s61, s82, 24                                    // 00000000C9F8: 8F3D9852
	s_and_b32 s82, s82, 0xffffff                               // 00000000C9FC: 8652FF52 00FFFFFF
	s_mul_i32 s82, s82, s71                                    // 00000000CA04: 92524752
	s_mul_i32 s61, s60, s61                                    // 00000000CA08: 923D3D3C
	s_add_u32 s82, s82, s61                                    // 00000000CA0C: 80523D52
	v_mul_lo_u32 v7, v4, s82                                   // 00000000CA10: D2850007 0000A504
	v_add_u32_e32 v66, v6, v7                                  // 00000000CA18: 68840F06
	v_readlane_b32 s82, v3, 2                                  // 00000000CA1C: D2890052 00010503
	s_lshr_b32 s61, s82, 24                                    // 00000000CA24: 8F3D9852
	s_and_b32 s82, s82, 0xffffff                               // 00000000CA28: 8652FF52 00FFFFFF
	s_mul_i32 s82, s82, s71                                    // 00000000CA30: 92524752
	s_mul_i32 s61, s60, s61                                    // 00000000CA34: 923D3D3C
	s_add_u32 s82, s82, s61                                    // 00000000CA38: 80523D52
	v_mul_lo_u32 v6, v5, s82                                   // 00000000CA3C: D2850006 0000A505
	v_readlane_b32 s82, v3, 3                                  // 00000000CA44: D2890052 00010703
	s_lshr_b32 s61, s82, 24                                    // 00000000CA4C: 8F3D9852
	s_and_b32 s82, s82, 0xffffff                               // 00000000CA50: 8652FF52 00FFFFFF
	s_mul_i32 s82, s82, s71                                    // 00000000CA58: 92524752
	s_mul_i32 s61, s60, s61                                    // 00000000CA5C: 923D3D3C
	s_add_u32 s82, s82, s61                                    // 00000000CA60: 80523D52
	v_mul_lo_u32 v7, v4, s82                                   // 00000000CA64: D2850007 0000A504
	v_add_u32_e32 v67, v6, v7                                  // 00000000CA6C: 68860F06
	v_readlane_b32 s82, v3, 4                                  // 00000000CA70: D2890052 00010903
	s_lshr_b32 s61, s82, 24                                    // 00000000CA78: 8F3D9852
	s_and_b32 s82, s82, 0xffffff                               // 00000000CA7C: 8652FF52 00FFFFFF
	s_mul_i32 s82, s82, s71                                    // 00000000CA84: 92524752
	s_mul_i32 s61, s60, s61                                    // 00000000CA88: 923D3D3C
	s_add_u32 s82, s82, s61                                    // 00000000CA8C: 80523D52
	v_mul_lo_u32 v6, v5, s82                                   // 00000000CA90: D2850006 0000A505
	v_readlane_b32 s82, v3, 5                                  // 00000000CA98: D2890052 00010B03
	s_lshr_b32 s61, s82, 24                                    // 00000000CAA0: 8F3D9852
	s_and_b32 s82, s82, 0xffffff                               // 00000000CAA4: 8652FF52 00FFFFFF
	s_mul_i32 s82, s82, s71                                    // 00000000CAAC: 92524752
	s_mul_i32 s61, s60, s61                                    // 00000000CAB0: 923D3D3C
	s_add_u32 s82, s82, s61                                    // 00000000CAB4: 80523D52
	v_mul_lo_u32 v7, v4, s82                                   // 00000000CAB8: D2850007 0000A504
	v_add_u32_e32 v68, v6, v7                                  // 00000000CAC0: 68880F06
	v_readlane_b32 s82, v3, 6                                  // 00000000CAC4: D2890052 00010D03
	s_lshr_b32 s61, s82, 24                                    // 00000000CACC: 8F3D9852
	s_and_b32 s82, s82, 0xffffff                               // 00000000CAD0: 8652FF52 00FFFFFF
	s_mul_i32 s82, s82, s71                                    // 00000000CAD8: 92524752
	s_mul_i32 s61, s60, s61                                    // 00000000CADC: 923D3D3C
	s_add_u32 s82, s82, s61                                    // 00000000CAE0: 80523D52
	v_mul_lo_u32 v6, v5, s82                                   // 00000000CAE4: D2850006 0000A505
	v_readlane_b32 s82, v3, 7                                  // 00000000CAEC: D2890052 00010F03
	s_lshr_b32 s61, s82, 24                                    // 00000000CAF4: 8F3D9852
	s_and_b32 s82, s82, 0xffffff                               // 00000000CAF8: 8652FF52 00FFFFFF
	s_mul_i32 s82, s82, s71                                    // 00000000CB00: 92524752
	s_mul_i32 s61, s60, s61                                    // 00000000CB04: 923D3D3C
	s_add_u32 s82, s82, s61                                    // 00000000CB08: 80523D52
	v_mul_lo_u32 v7, v4, s82                                   // 00000000CB0C: D2850007 0000A504
	v_add_u32_e32 v69, v6, v7                                  // 00000000CB14: 688A0F06
	v_readlane_b32 s82, v3, 8                                  // 00000000CB18: D2890052 00011103
	s_lshr_b32 s61, s82, 24                                    // 00000000CB20: 8F3D9852
	s_and_b32 s82, s82, 0xffffff                               // 00000000CB24: 8652FF52 00FFFFFF
	s_mul_i32 s82, s82, s71                                    // 00000000CB2C: 92524752
	s_mul_i32 s61, s60, s61                                    // 00000000CB30: 923D3D3C
	s_add_u32 s82, s82, s61                                    // 00000000CB34: 80523D52
	v_mul_lo_u32 v6, v5, s82                                   // 00000000CB38: D2850006 0000A505
	v_readlane_b32 s82, v3, 9                                  // 00000000CB40: D2890052 00011303
	s_lshr_b32 s61, s82, 24                                    // 00000000CB48: 8F3D9852
	s_and_b32 s82, s82, 0xffffff                               // 00000000CB4C: 8652FF52 00FFFFFF
	s_mul_i32 s82, s82, s71                                    // 00000000CB54: 92524752
	s_mul_i32 s61, s60, s61                                    // 00000000CB58: 923D3D3C
	s_add_u32 s82, s82, s61                                    // 00000000CB5C: 80523D52
	v_mul_lo_u32 v7, v4, s82                                   // 00000000CB60: D2850007 0000A504
	v_add_u32_e32 v70, v6, v7                                  // 00000000CB68: 688C0F06
	v_readlane_b32 s82, v3, 10                                 // 00000000CB6C: D2890052 00011503
	s_lshr_b32 s61, s82, 24                                    // 00000000CB74: 8F3D9852
	s_and_b32 s82, s82, 0xffffff                               // 00000000CB78: 8652FF52 00FFFFFF
	s_mul_i32 s82, s82, s71                                    // 00000000CB80: 92524752
	s_mul_i32 s61, s60, s61                                    // 00000000CB84: 923D3D3C
	s_add_u32 s82, s82, s61                                    // 00000000CB88: 80523D52
	v_mul_lo_u32 v6, v5, s82                                   // 00000000CB8C: D2850006 0000A505
	v_readlane_b32 s82, v3, 11                                 // 00000000CB94: D2890052 00011703
	s_lshr_b32 s61, s82, 24                                    // 00000000CB9C: 8F3D9852
	s_and_b32 s82, s82, 0xffffff                               // 00000000CBA0: 8652FF52 00FFFFFF
	s_mul_i32 s82, s82, s71                                    // 00000000CBA8: 92524752
	s_mul_i32 s61, s60, s61                                    // 00000000CBAC: 923D3D3C
	s_add_u32 s82, s82, s61                                    // 00000000CBB0: 80523D52
	v_mul_lo_u32 v7, v4, s82                                   // 00000000CBB4: D2850007 0000A504
	v_add_u32_e32 v71, v6, v7                                  // 00000000CBBC: 688E0F06
	v_readlane_b32 s82, v3, 12                                 // 00000000CBC0: D2890052 00011903
	s_lshr_b32 s61, s82, 24                                    // 00000000CBC8: 8F3D9852
	s_and_b32 s82, s82, 0xffffff                               // 00000000CBCC: 8652FF52 00FFFFFF
	s_mul_i32 s82, s82, s71                                    // 00000000CBD4: 92524752
	s_mul_i32 s61, s60, s61                                    // 00000000CBD8: 923D3D3C
	s_add_u32 s82, s82, s61                                    // 00000000CBDC: 80523D52
	v_mul_lo_u32 v6, v5, s82                                   // 00000000CBE0: D2850006 0000A505
	v_readlane_b32 s82, v3, 13                                 // 00000000CBE8: D2890052 00011B03
	s_lshr_b32 s61, s82, 24                                    // 00000000CBF0: 8F3D9852
	s_and_b32 s82, s82, 0xffffff                               // 00000000CBF4: 8652FF52 00FFFFFF
	s_mul_i32 s82, s82, s71                                    // 00000000CBFC: 92524752
	s_mul_i32 s61, s60, s61                                    // 00000000CC00: 923D3D3C
	s_add_u32 s82, s82, s61                                    // 00000000CC04: 80523D52
	v_mul_lo_u32 v7, v4, s82                                   // 00000000CC08: D2850007 0000A504
	v_add_u32_e32 v72, v6, v7                                  // 00000000CC10: 68900F06
	v_readlane_b32 s82, v3, 14                                 // 00000000CC14: D2890052 00011D03
	s_lshr_b32 s61, s82, 24                                    // 00000000CC1C: 8F3D9852
	s_and_b32 s82, s82, 0xffffff                               // 00000000CC20: 8652FF52 00FFFFFF
	s_mul_i32 s82, s82, s71                                    // 00000000CC28: 92524752
	s_mul_i32 s61, s60, s61                                    // 00000000CC2C: 923D3D3C
	s_add_u32 s82, s82, s61                                    // 00000000CC30: 80523D52
	v_mul_lo_u32 v6, v5, s82                                   // 00000000CC34: D2850006 0000A505
	v_readlane_b32 s82, v3, 15                                 // 00000000CC3C: D2890052 00011F03
	s_lshr_b32 s61, s82, 24                                    // 00000000CC44: 8F3D9852
	s_and_b32 s82, s82, 0xffffff                               // 00000000CC48: 8652FF52 00FFFFFF
	s_mul_i32 s82, s82, s71                                    // 00000000CC50: 92524752
	s_mul_i32 s61, s60, s61                                    // 00000000CC54: 923D3D3C
	s_add_u32 s82, s82, s61                                    // 00000000CC58: 80523D52
	v_mul_lo_u32 v7, v4, s82                                   // 00000000CC5C: D2850007 0000A504
	v_add_u32_e32 v73, v6, v7                                  // 00000000CC64: 68920F06
	v_readlane_b32 s82, v3, 16                                 // 00000000CC68: D2890052 00012103
	s_lshr_b32 s61, s82, 24                                    // 00000000CC70: 8F3D9852
	s_and_b32 s82, s82, 0xffffff                               // 00000000CC74: 8652FF52 00FFFFFF
	s_mul_i32 s82, s82, s71                                    // 00000000CC7C: 92524752
	s_mul_i32 s61, s60, s61                                    // 00000000CC80: 923D3D3C
	s_add_u32 s82, s82, s61                                    // 00000000CC84: 80523D52
	v_mul_lo_u32 v6, v5, s82                                   // 00000000CC88: D2850006 0000A505
	v_readlane_b32 s82, v3, 17                                 // 00000000CC90: D2890052 00012303
	s_lshr_b32 s61, s82, 24                                    // 00000000CC98: 8F3D9852
	s_and_b32 s82, s82, 0xffffff                               // 00000000CC9C: 8652FF52 00FFFFFF
	s_mul_i32 s82, s82, s71                                    // 00000000CCA4: 92524752
	s_mul_i32 s61, s60, s61                                    // 00000000CCA8: 923D3D3C
	s_add_u32 s82, s82, s61                                    // 00000000CCAC: 80523D52
	v_mul_lo_u32 v7, v4, s82                                   // 00000000CCB0: D2850007 0000A504
	v_add_u32_e32 v74, v6, v7                                  // 00000000CCB8: 68940F06
	v_readlane_b32 s82, v3, 18                                 // 00000000CCBC: D2890052 00012503
	s_lshr_b32 s61, s82, 24                                    // 00000000CCC4: 8F3D9852
	s_and_b32 s82, s82, 0xffffff                               // 00000000CCC8: 8652FF52 00FFFFFF
	s_mul_i32 s82, s82, s71                                    // 00000000CCD0: 92524752
	s_mul_i32 s61, s60, s61                                    // 00000000CCD4: 923D3D3C
	s_add_u32 s82, s82, s61                                    // 00000000CCD8: 80523D52
	v_mul_lo_u32 v6, v5, s82                                   // 00000000CCDC: D2850006 0000A505
	v_readlane_b32 s82, v3, 19                                 // 00000000CCE4: D2890052 00012703
	s_lshr_b32 s61, s82, 24                                    // 00000000CCEC: 8F3D9852
	s_and_b32 s82, s82, 0xffffff                               // 00000000CCF0: 8652FF52 00FFFFFF
	s_mul_i32 s82, s82, s71                                    // 00000000CCF8: 92524752
	s_mul_i32 s61, s60, s61                                    // 00000000CCFC: 923D3D3C
	s_add_u32 s82, s82, s61                                    // 00000000CD00: 80523D52
	v_mul_lo_u32 v7, v4, s82                                   // 00000000CD04: D2850007 0000A504
	v_add_u32_e32 v75, v6, v7                                  // 00000000CD0C: 68960F06
	v_readlane_b32 s82, v3, 20                                 // 00000000CD10: D2890052 00012903
	s_lshr_b32 s61, s82, 24                                    // 00000000CD18: 8F3D9852
	s_and_b32 s82, s82, 0xffffff                               // 00000000CD1C: 8652FF52 00FFFFFF
	s_mul_i32 s82, s82, s71                                    // 00000000CD24: 92524752
	s_mul_i32 s61, s60, s61                                    // 00000000CD28: 923D3D3C
	s_add_u32 s82, s82, s61                                    // 00000000CD2C: 80523D52
	v_mul_lo_u32 v6, v5, s82                                   // 00000000CD30: D2850006 0000A505
	v_readlane_b32 s82, v3, 21                                 // 00000000CD38: D2890052 00012B03
	s_lshr_b32 s61, s82, 24                                    // 00000000CD40: 8F3D9852
	s_and_b32 s82, s82, 0xffffff                               // 00000000CD44: 8652FF52 00FFFFFF
	s_mul_i32 s82, s82, s71                                    // 00000000CD4C: 92524752
	s_mul_i32 s61, s60, s61                                    // 00000000CD50: 923D3D3C
	s_add_u32 s82, s82, s61                                    // 00000000CD54: 80523D52
	v_mul_lo_u32 v7, v4, s82                                   // 00000000CD58: D2850007 0000A504
	v_add_u32_e32 v76, v6, v7                                  // 00000000CD60: 68980F06
	v_readlane_b32 s82, v3, 22                                 // 00000000CD64: D2890052 00012D03
	s_lshr_b32 s61, s82, 24                                    // 00000000CD6C: 8F3D9852
	s_and_b32 s82, s82, 0xffffff                               // 00000000CD70: 8652FF52 00FFFFFF
	s_mul_i32 s82, s82, s71                                    // 00000000CD78: 92524752
	s_mul_i32 s61, s60, s61                                    // 00000000CD7C: 923D3D3C
	s_add_u32 s82, s82, s61                                    // 00000000CD80: 80523D52
	v_mul_lo_u32 v6, v5, s82                                   // 00000000CD84: D2850006 0000A505
	v_readlane_b32 s82, v3, 23                                 // 00000000CD8C: D2890052 00012F03
	s_lshr_b32 s61, s82, 24                                    // 00000000CD94: 8F3D9852
	s_and_b32 s82, s82, 0xffffff                               // 00000000CD98: 8652FF52 00FFFFFF
	s_mul_i32 s82, s82, s71                                    // 00000000CDA0: 92524752
	s_mul_i32 s61, s60, s61                                    // 00000000CDA4: 923D3D3C
	s_add_u32 s82, s82, s61                                    // 00000000CDA8: 80523D52
	v_mul_lo_u32 v7, v4, s82                                   // 00000000CDAC: D2850007 0000A504
	v_add_u32_e32 v77, v6, v7                                  // 00000000CDB4: 689A0F06
	v_readlane_b32 s82, v3, 24                                 // 00000000CDB8: D2890052 00013103
	s_lshr_b32 s61, s82, 24                                    // 00000000CDC0: 8F3D9852
	s_and_b32 s82, s82, 0xffffff                               // 00000000CDC4: 8652FF52 00FFFFFF
	s_mul_i32 s82, s82, s71                                    // 00000000CDCC: 92524752
	s_mul_i32 s61, s60, s61                                    // 00000000CDD0: 923D3D3C
	s_add_u32 s82, s82, s61                                    // 00000000CDD4: 80523D52
	v_mul_lo_u32 v6, v5, s82                                   // 00000000CDD8: D2850006 0000A505
	v_readlane_b32 s82, v3, 25                                 // 00000000CDE0: D2890052 00013303
	s_lshr_b32 s61, s82, 24                                    // 00000000CDE8: 8F3D9852
	s_and_b32 s82, s82, 0xffffff                               // 00000000CDEC: 8652FF52 00FFFFFF
	s_mul_i32 s82, s82, s71                                    // 00000000CDF4: 92524752
	s_mul_i32 s61, s60, s61                                    // 00000000CDF8: 923D3D3C
	s_add_u32 s82, s82, s61                                    // 00000000CDFC: 80523D52
	v_mul_lo_u32 v7, v4, s82                                   // 00000000CE00: D2850007 0000A504
	v_add_u32_e32 v78, v6, v7                                  // 00000000CE08: 689C0F06
	v_readlane_b32 s82, v3, 26                                 // 00000000CE0C: D2890052 00013503
	s_lshr_b32 s61, s82, 24                                    // 00000000CE14: 8F3D9852
	s_and_b32 s82, s82, 0xffffff                               // 00000000CE18: 8652FF52 00FFFFFF
	s_mul_i32 s82, s82, s71                                    // 00000000CE20: 92524752
	s_mul_i32 s61, s60, s61                                    // 00000000CE24: 923D3D3C
	s_add_u32 s82, s82, s61                                    // 00000000CE28: 80523D52
	v_mul_lo_u32 v6, v5, s82                                   // 00000000CE2C: D2850006 0000A505
	v_readlane_b32 s82, v3, 27                                 // 00000000CE34: D2890052 00013703
	s_lshr_b32 s61, s82, 24                                    // 00000000CE3C: 8F3D9852
	s_and_b32 s82, s82, 0xffffff                               // 00000000CE40: 8652FF52 00FFFFFF
	s_mul_i32 s82, s82, s71                                    // 00000000CE48: 92524752
	s_mul_i32 s61, s60, s61                                    // 00000000CE4C: 923D3D3C
	s_add_u32 s82, s82, s61                                    // 00000000CE50: 80523D52
	v_mul_lo_u32 v7, v4, s82                                   // 00000000CE54: D2850007 0000A504
	v_add_u32_e32 v79, v6, v7                                  // 00000000CE5C: 689E0F06
	v_readlane_b32 s82, v3, 28                                 // 00000000CE60: D2890052 00013903
	s_lshr_b32 s61, s82, 24                                    // 00000000CE68: 8F3D9852
	s_and_b32 s82, s82, 0xffffff                               // 00000000CE6C: 8652FF52 00FFFFFF
	s_mul_i32 s82, s82, s71                                    // 00000000CE74: 92524752
	s_mul_i32 s61, s60, s61                                    // 00000000CE78: 923D3D3C
	s_add_u32 s82, s82, s61                                    // 00000000CE7C: 80523D52
	v_mul_lo_u32 v6, v5, s82                                   // 00000000CE80: D2850006 0000A505
	v_readlane_b32 s82, v3, 29                                 // 00000000CE88: D2890052 00013B03
	s_lshr_b32 s61, s82, 24                                    // 00000000CE90: 8F3D9852
	s_and_b32 s82, s82, 0xffffff                               // 00000000CE94: 8652FF52 00FFFFFF
	s_mul_i32 s82, s82, s71                                    // 00000000CE9C: 92524752
	s_mul_i32 s61, s60, s61                                    // 00000000CEA0: 923D3D3C
	s_add_u32 s82, s82, s61                                    // 00000000CEA4: 80523D52
	v_mul_lo_u32 v7, v4, s82                                   // 00000000CEA8: D2850007 0000A504
	v_add_u32_e32 v80, v6, v7                                  // 00000000CEB0: 68A00F06
	v_readlane_b32 s82, v3, 30                                 // 00000000CEB4: D2890052 00013D03
	s_lshr_b32 s61, s82, 24                                    // 00000000CEBC: 8F3D9852
	s_and_b32 s82, s82, 0xffffff                               // 00000000CEC0: 8652FF52 00FFFFFF
	s_mul_i32 s82, s82, s71                                    // 00000000CEC8: 92524752
	s_mul_i32 s61, s60, s61                                    // 00000000CECC: 923D3D3C
	s_add_u32 s82, s82, s61                                    // 00000000CED0: 80523D52
	v_mul_lo_u32 v6, v5, s82                                   // 00000000CED4: D2850006 0000A505
	v_readlane_b32 s82, v3, 31                                 // 00000000CEDC: D2890052 00013F03
	s_lshr_b32 s61, s82, 24                                    // 00000000CEE4: 8F3D9852
	s_and_b32 s82, s82, 0xffffff                               // 00000000CEE8: 8652FF52 00FFFFFF
	s_mul_i32 s82, s82, s71                                    // 00000000CEF0: 92524752
	s_mul_i32 s61, s60, s61                                    // 00000000CEF4: 923D3D3C
	s_add_u32 s82, s82, s61                                    // 00000000CEF8: 80523D52
	v_mul_lo_u32 v7, v4, s82                                   // 00000000CEFC: D2850007 0000A504
	v_add_u32_e32 v81, v6, v7                                  // 00000000CF04: 68A20F06
	v_readlane_b32 s82, v3, 32                                 // 00000000CF08: D2890052 00014103
	s_lshr_b32 s61, s82, 24                                    // 00000000CF10: 8F3D9852
	s_and_b32 s82, s82, 0xffffff                               // 00000000CF14: 8652FF52 00FFFFFF
	s_mul_i32 s82, s82, s71                                    // 00000000CF1C: 92524752
	s_mul_i32 s61, s60, s61                                    // 00000000CF20: 923D3D3C
	s_add_u32 s82, s82, s61                                    // 00000000CF24: 80523D52
	v_mul_lo_u32 v6, v5, s82                                   // 00000000CF28: D2850006 0000A505
	v_readlane_b32 s82, v3, 33                                 // 00000000CF30: D2890052 00014303
	s_lshr_b32 s61, s82, 24                                    // 00000000CF38: 8F3D9852
	s_and_b32 s82, s82, 0xffffff                               // 00000000CF3C: 8652FF52 00FFFFFF
	s_mul_i32 s82, s82, s71                                    // 00000000CF44: 92524752
	s_mul_i32 s61, s60, s61                                    // 00000000CF48: 923D3D3C
	s_add_u32 s82, s82, s61                                    // 00000000CF4C: 80523D52
	v_mul_lo_u32 v7, v4, s82                                   // 00000000CF50: D2850007 0000A504
	v_add_u32_e32 v82, v6, v7                                  // 00000000CF58: 68A40F06
	v_readlane_b32 s82, v3, 34                                 // 00000000CF5C: D2890052 00014503
	s_lshr_b32 s61, s82, 24                                    // 00000000CF64: 8F3D9852
	s_and_b32 s82, s82, 0xffffff                               // 00000000CF68: 8652FF52 00FFFFFF
	s_mul_i32 s82, s82, s71                                    // 00000000CF70: 92524752
	s_mul_i32 s61, s60, s61                                    // 00000000CF74: 923D3D3C
	s_add_u32 s82, s82, s61                                    // 00000000CF78: 80523D52
	v_mul_lo_u32 v6, v5, s82                                   // 00000000CF7C: D2850006 0000A505
	v_readlane_b32 s82, v3, 35                                 // 00000000CF84: D2890052 00014703
	s_lshr_b32 s61, s82, 24                                    // 00000000CF8C: 8F3D9852
	s_and_b32 s82, s82, 0xffffff                               // 00000000CF90: 8652FF52 00FFFFFF
	s_mul_i32 s82, s82, s71                                    // 00000000CF98: 92524752
	s_mul_i32 s61, s60, s61                                    // 00000000CF9C: 923D3D3C
	s_add_u32 s82, s82, s61                                    // 00000000CFA0: 80523D52
	v_mul_lo_u32 v7, v4, s82                                   // 00000000CFA4: D2850007 0000A504
	v_add_u32_e32 v83, v6, v7                                  // 00000000CFAC: 68A60F06
	v_and_b32_e32 v4, 31, v0                                   // 00000000CFB0: 2608009F
	v_lshrrev_b32_e32 v4, 1, v4                                // 00000000CFB4: 20080881
	s_cmp_eq_u32 s88, 0                                        // 00000000CFB8: BF068058
	s_cselect_b32 s61, 2, 4                                    // 00000000CFBC: 853D8482
	v_mul_lo_u32 v4, v4, s61                                   // 00000000CFC0: D2850004 00007B04
	v_and_b32_e64 v5, v0, 1                                    // 00000000CFC8: D1130005 00010300
	v_add_u32_e32 v4, v4, v5                                   // 00000000CFD0: 68080B04
	v_lshlrev_b32_e32 v4, 2, v4                                // 00000000CFD4: 24080882
	v_add_u32_e32 v66, v66, v4                                 // 00000000CFD8: 68840942
	v_add_u32_e32 v67, v67, v4                                 // 00000000CFDC: 68860943
	v_add_u32_e32 v68, v68, v4                                 // 00000000CFE0: 68880944
	v_add_u32_e32 v69, v69, v4                                 // 00000000CFE4: 688A0945
	v_add_u32_e32 v70, v70, v4                                 // 00000000CFE8: 688C0946
	v_add_u32_e32 v71, v71, v4                                 // 00000000CFEC: 688E0947
	v_add_u32_e32 v72, v72, v4                                 // 00000000CFF0: 68900948
	v_add_u32_e32 v73, v73, v4                                 // 00000000CFF4: 68920949
	v_add_u32_e32 v74, v74, v4                                 // 00000000CFF8: 6894094A
	v_add_u32_e32 v75, v75, v4                                 // 00000000CFFC: 6896094B
	v_add_u32_e32 v76, v76, v4                                 // 00000000D000: 6898094C
	v_add_u32_e32 v77, v77, v4                                 // 00000000D004: 689A094D
	v_add_u32_e32 v78, v78, v4                                 // 00000000D008: 689C094E
	v_add_u32_e32 v79, v79, v4                                 // 00000000D00C: 689E094F
	v_add_u32_e32 v80, v80, v4                                 // 00000000D010: 68A00950
	v_add_u32_e32 v81, v81, v4                                 // 00000000D014: 68A20951
	v_add_u32_e32 v82, v82, v4                                 // 00000000D018: 68A40952
	v_add_u32_e32 v83, v83, v4                                 // 00000000D01C: 68A60953
	s_waitcnt lgkmcnt(0)                                       // 00000000D020: BF8CC07F
	s_barrier                                                  // 00000000D024: BF8A0000
	ds_read_b32 v88, v21                                       // 00000000D028: D86C0000 58000015
	ds_read_b32 v89, v21 offset:64                             // 00000000D030: D86C0040 59000015
	ds_read_b32 v92, v21 offset:2176                           // 00000000D038: D86C0880 5C000015
	ds_read_b32 v93, v21 offset:2240                           // 00000000D040: D86C08C0 5D000015
	ds_read_b32 v96, v21 offset:4352                           // 00000000D048: D86C1100 60000015
	ds_read_b32 v97, v21 offset:4416                           // 00000000D050: D86C1140 61000015
	ds_read_b32 v100, v21 offset:6528                          // 00000000D058: D86C1980 64000015
	ds_read_b32 v101, v21 offset:6592                          // 00000000D060: D86C19C0 65000015
	ds_read_b32 v104, v21 offset:8704                          // 00000000D068: D86C2200 68000015
	ds_read_b32 v105, v21 offset:8768                          // 00000000D070: D86C2240 69000015
	ds_read_b32 v108, v21 offset:10880                         // 00000000D078: D86C2A80 6C000015
	ds_read_b32 v109, v21 offset:10944                         // 00000000D080: D86C2AC0 6D000015
	ds_read_b32 v112, v21 offset:13056                         // 00000000D088: D86C3300 70000015
	ds_read_b32 v113, v21 offset:13120                         // 00000000D090: D86C3340 71000015
	ds_read_b32 v116, v21 offset:15232                         // 00000000D098: D86C3B80 74000015
	ds_read_b32 v117, v21 offset:15296                         // 00000000D0A0: D86C3BC0 75000015
	ds_read_b32 v120, v21 offset:17408                         // 00000000D0A8: D86C4400 78000015
	ds_read_b32 v121, v21 offset:17472                         // 00000000D0B0: D86C4440 79000015
	s_waitcnt lgkmcnt(0)                                       // 00000000D0B8: BF8CC07F
	s_mov_b32 s36, -1                                          // 00000000D0BC: BEA400C1
	s_mov_b32 s37, -1                                          // 00000000D0C0: BEA500C1
	v_mov_b32_e32 v7, 0                                        // 00000000D0C4: 7E0E0280
	s_mov_b64 exec, s[36:37]                                   // 00000000D0C8: BEFE0124
	v_mov_b32_e32 v6, v66                                      // 00000000D0CC: 7E0C0342
	s_mov_b64 s[60:61], 0                                      // 00000000D0D0: BEBC0180
	v_readlane_b32 s82, v3, 0                                  // 00000000D0D4: D2890052 00010103
	s_and_b32 s82, s82, 0xffffff                               // 00000000D0DC: 8652FF52 00FFFFFF
	s_cmp_lt_u32 s82, s66                                      // 00000000D0E4: BF0A4252
	s_cselect_b32 s20, s36, s60                                // 00000000D0E8: 85143C24
	v_readlane_b32 s82, v3, 1                                  // 00000000D0EC: D2890052 00010303
	s_and_b32 s82, s82, 0xffffff                               // 00000000D0F4: 8652FF52 00FFFFFF
	s_cmp_lt_u32 s82, s66                                      // 00000000D0FC: BF0A4252
	s_cselect_b32 s21, s36, s60                                // 00000000D100: 85153C24
	s_mov_b64 exec, s[20:21]                                   // 00000000D104: BEFE0114
	global_atomic_add_f32 v6, v88, s[8:9]                      // 00000000D108: DD348000 00085806
	s_mov_b64 exec, s[36:37]                                   // 00000000D110: BEFE0124
	v_mov_b32_e32 v6, v67                                      // 00000000D114: 7E0C0343
	s_mov_b64 s[60:61], 0                                      // 00000000D118: BEBC0180
	v_readlane_b32 s82, v3, 2                                  // 00000000D11C: D2890052 00010503
	s_and_b32 s82, s82, 0xffffff                               // 00000000D124: 8652FF52 00FFFFFF
	s_cmp_lt_u32 s82, s66                                      // 00000000D12C: BF0A4252
	s_cselect_b32 s20, s36, s60                                // 00000000D130: 85143C24
	v_readlane_b32 s82, v3, 3                                  // 00000000D134: D2890052 00010703
	s_and_b32 s82, s82, 0xffffff                               // 00000000D13C: 8652FF52 00FFFFFF
	s_cmp_lt_u32 s82, s66                                      // 00000000D144: BF0A4252
	s_cselect_b32 s21, s36, s60                                // 00000000D148: 85153C24
	s_mov_b64 exec, s[20:21]                                   // 00000000D14C: BEFE0114
	global_atomic_add_f32 v6, v89, s[8:9]                      // 00000000D150: DD348000 00085906
	s_mov_b64 exec, s[36:37]                                   // 00000000D158: BEFE0124
	v_mov_b32_e32 v6, v68                                      // 00000000D15C: 7E0C0344
	s_mov_b64 s[60:61], 0                                      // 00000000D160: BEBC0180
	v_readlane_b32 s82, v3, 4                                  // 00000000D164: D2890052 00010903
	s_and_b32 s82, s82, 0xffffff                               // 00000000D16C: 8652FF52 00FFFFFF
	s_cmp_lt_u32 s82, s66                                      // 00000000D174: BF0A4252
	s_cselect_b32 s20, s36, s60                                // 00000000D178: 85143C24
	v_readlane_b32 s82, v3, 5                                  // 00000000D17C: D2890052 00010B03
	s_and_b32 s82, s82, 0xffffff                               // 00000000D184: 8652FF52 00FFFFFF
	s_cmp_lt_u32 s82, s66                                      // 00000000D18C: BF0A4252
	s_cselect_b32 s21, s36, s60                                // 00000000D190: 85153C24
	s_mov_b64 exec, s[20:21]                                   // 00000000D194: BEFE0114
	global_atomic_add_f32 v6, v92, s[8:9]                      // 00000000D198: DD348000 00085C06
	s_mov_b64 exec, s[36:37]                                   // 00000000D1A0: BEFE0124
	v_mov_b32_e32 v6, v69                                      // 00000000D1A4: 7E0C0345
	s_mov_b64 s[60:61], 0                                      // 00000000D1A8: BEBC0180
	v_readlane_b32 s82, v3, 6                                  // 00000000D1AC: D2890052 00010D03
	s_and_b32 s82, s82, 0xffffff                               // 00000000D1B4: 8652FF52 00FFFFFF
	s_cmp_lt_u32 s82, s66                                      // 00000000D1BC: BF0A4252
	s_cselect_b32 s20, s36, s60                                // 00000000D1C0: 85143C24
	v_readlane_b32 s82, v3, 7                                  // 00000000D1C4: D2890052 00010F03
	s_and_b32 s82, s82, 0xffffff                               // 00000000D1CC: 8652FF52 00FFFFFF
	s_cmp_lt_u32 s82, s66                                      // 00000000D1D4: BF0A4252
	s_cselect_b32 s21, s36, s60                                // 00000000D1D8: 85153C24
	s_mov_b64 exec, s[20:21]                                   // 00000000D1DC: BEFE0114
	global_atomic_add_f32 v6, v93, s[8:9]                      // 00000000D1E0: DD348000 00085D06
	s_mov_b64 exec, s[36:37]                                   // 00000000D1E8: BEFE0124
	v_mov_b32_e32 v6, v70                                      // 00000000D1EC: 7E0C0346
	s_mov_b64 s[60:61], 0                                      // 00000000D1F0: BEBC0180
	v_readlane_b32 s82, v3, 8                                  // 00000000D1F4: D2890052 00011103
	s_and_b32 s82, s82, 0xffffff                               // 00000000D1FC: 8652FF52 00FFFFFF
	s_cmp_lt_u32 s82, s66                                      // 00000000D204: BF0A4252
	s_cselect_b32 s20, s36, s60                                // 00000000D208: 85143C24
	v_readlane_b32 s82, v3, 9                                  // 00000000D20C: D2890052 00011303
	s_and_b32 s82, s82, 0xffffff                               // 00000000D214: 8652FF52 00FFFFFF
	s_cmp_lt_u32 s82, s66                                      // 00000000D21C: BF0A4252
	s_cselect_b32 s21, s36, s60                                // 00000000D220: 85153C24
	s_mov_b64 exec, s[20:21]                                   // 00000000D224: BEFE0114
	global_atomic_add_f32 v6, v96, s[8:9]                      // 00000000D228: DD348000 00086006
	s_mov_b64 exec, s[36:37]                                   // 00000000D230: BEFE0124
	v_mov_b32_e32 v6, v71                                      // 00000000D234: 7E0C0347
	s_mov_b64 s[60:61], 0                                      // 00000000D238: BEBC0180
	v_readlane_b32 s82, v3, 10                                 // 00000000D23C: D2890052 00011503
	s_and_b32 s82, s82, 0xffffff                               // 00000000D244: 8652FF52 00FFFFFF
	s_cmp_lt_u32 s82, s66                                      // 00000000D24C: BF0A4252
	s_cselect_b32 s20, s36, s60                                // 00000000D250: 85143C24
	v_readlane_b32 s82, v3, 11                                 // 00000000D254: D2890052 00011703
	s_and_b32 s82, s82, 0xffffff                               // 00000000D25C: 8652FF52 00FFFFFF
	s_cmp_lt_u32 s82, s66                                      // 00000000D264: BF0A4252
	s_cselect_b32 s21, s36, s60                                // 00000000D268: 85153C24
	s_mov_b64 exec, s[20:21]                                   // 00000000D26C: BEFE0114
	global_atomic_add_f32 v6, v97, s[8:9]                      // 00000000D270: DD348000 00086106
	s_mov_b64 exec, s[36:37]                                   // 00000000D278: BEFE0124
	v_mov_b32_e32 v6, v72                                      // 00000000D27C: 7E0C0348
	s_mov_b64 s[60:61], 0                                      // 00000000D280: BEBC0180
	v_readlane_b32 s82, v3, 12                                 // 00000000D284: D2890052 00011903
	s_and_b32 s82, s82, 0xffffff                               // 00000000D28C: 8652FF52 00FFFFFF
	s_cmp_lt_u32 s82, s66                                      // 00000000D294: BF0A4252
	s_cselect_b32 s20, s36, s60                                // 00000000D298: 85143C24
	v_readlane_b32 s82, v3, 13                                 // 00000000D29C: D2890052 00011B03
	s_and_b32 s82, s82, 0xffffff                               // 00000000D2A4: 8652FF52 00FFFFFF
	s_cmp_lt_u32 s82, s66                                      // 00000000D2AC: BF0A4252
	s_cselect_b32 s21, s36, s60                                // 00000000D2B0: 85153C24
	s_mov_b64 exec, s[20:21]                                   // 00000000D2B4: BEFE0114
	global_atomic_add_f32 v6, v100, s[8:9]                     // 00000000D2B8: DD348000 00086406
	s_mov_b64 exec, s[36:37]                                   // 00000000D2C0: BEFE0124
	v_mov_b32_e32 v6, v73                                      // 00000000D2C4: 7E0C0349
	s_mov_b64 s[60:61], 0                                      // 00000000D2C8: BEBC0180
	v_readlane_b32 s82, v3, 14                                 // 00000000D2CC: D2890052 00011D03
	s_and_b32 s82, s82, 0xffffff                               // 00000000D2D4: 8652FF52 00FFFFFF
	s_cmp_lt_u32 s82, s66                                      // 00000000D2DC: BF0A4252
	s_cselect_b32 s20, s36, s60                                // 00000000D2E0: 85143C24
	v_readlane_b32 s82, v3, 15                                 // 00000000D2E4: D2890052 00011F03
	s_and_b32 s82, s82, 0xffffff                               // 00000000D2EC: 8652FF52 00FFFFFF
	s_cmp_lt_u32 s82, s66                                      // 00000000D2F4: BF0A4252
	s_cselect_b32 s21, s36, s60                                // 00000000D2F8: 85153C24
	s_mov_b64 exec, s[20:21]                                   // 00000000D2FC: BEFE0114
	global_atomic_add_f32 v6, v101, s[8:9]                     // 00000000D300: DD348000 00086506
	s_mov_b64 exec, s[36:37]                                   // 00000000D308: BEFE0124
	v_mov_b32_e32 v6, v74                                      // 00000000D30C: 7E0C034A
	s_mov_b64 s[60:61], 0                                      // 00000000D310: BEBC0180
	v_readlane_b32 s82, v3, 16                                 // 00000000D314: D2890052 00012103
	s_and_b32 s82, s82, 0xffffff                               // 00000000D31C: 8652FF52 00FFFFFF
	s_cmp_lt_u32 s82, s66                                      // 00000000D324: BF0A4252
	s_cselect_b32 s20, s36, s60                                // 00000000D328: 85143C24
	v_readlane_b32 s82, v3, 17                                 // 00000000D32C: D2890052 00012303
	s_and_b32 s82, s82, 0xffffff                               // 00000000D334: 8652FF52 00FFFFFF
	s_cmp_lt_u32 s82, s66                                      // 00000000D33C: BF0A4252
	s_cselect_b32 s21, s36, s60                                // 00000000D340: 85153C24
	s_mov_b64 exec, s[20:21]                                   // 00000000D344: BEFE0114
	global_atomic_add_f32 v6, v104, s[8:9]                     // 00000000D348: DD348000 00086806
	s_mov_b64 exec, s[36:37]                                   // 00000000D350: BEFE0124
	v_mov_b32_e32 v6, v75                                      // 00000000D354: 7E0C034B
	s_mov_b64 s[60:61], 0                                      // 00000000D358: BEBC0180
	v_readlane_b32 s82, v3, 18                                 // 00000000D35C: D2890052 00012503
	s_and_b32 s82, s82, 0xffffff                               // 00000000D364: 8652FF52 00FFFFFF
	s_cmp_lt_u32 s82, s66                                      // 00000000D36C: BF0A4252
	s_cselect_b32 s20, s36, s60                                // 00000000D370: 85143C24
	v_readlane_b32 s82, v3, 19                                 // 00000000D374: D2890052 00012703
	s_and_b32 s82, s82, 0xffffff                               // 00000000D37C: 8652FF52 00FFFFFF
	s_cmp_lt_u32 s82, s66                                      // 00000000D384: BF0A4252
	s_cselect_b32 s21, s36, s60                                // 00000000D388: 85153C24
	s_mov_b64 exec, s[20:21]                                   // 00000000D38C: BEFE0114
	global_atomic_add_f32 v6, v105, s[8:9]                     // 00000000D390: DD348000 00086906
	s_mov_b64 exec, s[36:37]                                   // 00000000D398: BEFE0124
	v_mov_b32_e32 v6, v76                                      // 00000000D39C: 7E0C034C
	s_mov_b64 s[60:61], 0                                      // 00000000D3A0: BEBC0180
	v_readlane_b32 s82, v3, 20                                 // 00000000D3A4: D2890052 00012903
	s_and_b32 s82, s82, 0xffffff                               // 00000000D3AC: 8652FF52 00FFFFFF
	s_cmp_lt_u32 s82, s66                                      // 00000000D3B4: BF0A4252
	s_cselect_b32 s20, s36, s60                                // 00000000D3B8: 85143C24
	v_readlane_b32 s82, v3, 21                                 // 00000000D3BC: D2890052 00012B03
	s_and_b32 s82, s82, 0xffffff                               // 00000000D3C4: 8652FF52 00FFFFFF
	s_cmp_lt_u32 s82, s66                                      // 00000000D3CC: BF0A4252
	s_cselect_b32 s21, s36, s60                                // 00000000D3D0: 85153C24
	s_mov_b64 exec, s[20:21]                                   // 00000000D3D4: BEFE0114
	global_atomic_add_f32 v6, v108, s[8:9]                     // 00000000D3D8: DD348000 00086C06
	s_mov_b64 exec, s[36:37]                                   // 00000000D3E0: BEFE0124
	v_mov_b32_e32 v6, v77                                      // 00000000D3E4: 7E0C034D
	s_mov_b64 s[60:61], 0                                      // 00000000D3E8: BEBC0180
	v_readlane_b32 s82, v3, 22                                 // 00000000D3EC: D2890052 00012D03
	s_and_b32 s82, s82, 0xffffff                               // 00000000D3F4: 8652FF52 00FFFFFF
	s_cmp_lt_u32 s82, s66                                      // 00000000D3FC: BF0A4252
	s_cselect_b32 s20, s36, s60                                // 00000000D400: 85143C24
	v_readlane_b32 s82, v3, 23                                 // 00000000D404: D2890052 00012F03
	s_and_b32 s82, s82, 0xffffff                               // 00000000D40C: 8652FF52 00FFFFFF
	s_cmp_lt_u32 s82, s66                                      // 00000000D414: BF0A4252
	s_cselect_b32 s21, s36, s60                                // 00000000D418: 85153C24
	s_mov_b64 exec, s[20:21]                                   // 00000000D41C: BEFE0114
	global_atomic_add_f32 v6, v109, s[8:9]                     // 00000000D420: DD348000 00086D06
	s_mov_b64 exec, s[36:37]                                   // 00000000D428: BEFE0124
	v_mov_b32_e32 v6, v78                                      // 00000000D42C: 7E0C034E
	s_mov_b64 s[60:61], 0                                      // 00000000D430: BEBC0180
	v_readlane_b32 s82, v3, 24                                 // 00000000D434: D2890052 00013103
	s_and_b32 s82, s82, 0xffffff                               // 00000000D43C: 8652FF52 00FFFFFF
	s_cmp_lt_u32 s82, s66                                      // 00000000D444: BF0A4252
	s_cselect_b32 s20, s36, s60                                // 00000000D448: 85143C24
	v_readlane_b32 s82, v3, 25                                 // 00000000D44C: D2890052 00013303
	s_and_b32 s82, s82, 0xffffff                               // 00000000D454: 8652FF52 00FFFFFF
	s_cmp_lt_u32 s82, s66                                      // 00000000D45C: BF0A4252
	s_cselect_b32 s21, s36, s60                                // 00000000D460: 85153C24
	s_mov_b64 exec, s[20:21]                                   // 00000000D464: BEFE0114
	global_atomic_add_f32 v6, v112, s[8:9]                     // 00000000D468: DD348000 00087006
	s_mov_b64 exec, s[36:37]                                   // 00000000D470: BEFE0124
	v_mov_b32_e32 v6, v79                                      // 00000000D474: 7E0C034F
	s_mov_b64 s[60:61], 0                                      // 00000000D478: BEBC0180
	v_readlane_b32 s82, v3, 26                                 // 00000000D47C: D2890052 00013503
	s_and_b32 s82, s82, 0xffffff                               // 00000000D484: 8652FF52 00FFFFFF
	s_cmp_lt_u32 s82, s66                                      // 00000000D48C: BF0A4252
	s_cselect_b32 s20, s36, s60                                // 00000000D490: 85143C24
	v_readlane_b32 s82, v3, 27                                 // 00000000D494: D2890052 00013703
	s_and_b32 s82, s82, 0xffffff                               // 00000000D49C: 8652FF52 00FFFFFF
	s_cmp_lt_u32 s82, s66                                      // 00000000D4A4: BF0A4252
	s_cselect_b32 s21, s36, s60                                // 00000000D4A8: 85153C24
	s_mov_b64 exec, s[20:21]                                   // 00000000D4AC: BEFE0114
	global_atomic_add_f32 v6, v113, s[8:9]                     // 00000000D4B0: DD348000 00087106
	s_mov_b64 exec, s[36:37]                                   // 00000000D4B8: BEFE0124
	v_mov_b32_e32 v6, v80                                      // 00000000D4BC: 7E0C0350
	s_mov_b64 s[60:61], 0                                      // 00000000D4C0: BEBC0180
	v_readlane_b32 s82, v3, 28                                 // 00000000D4C4: D2890052 00013903
	s_and_b32 s82, s82, 0xffffff                               // 00000000D4CC: 8652FF52 00FFFFFF
	s_cmp_lt_u32 s82, s66                                      // 00000000D4D4: BF0A4252
	s_cselect_b32 s20, s36, s60                                // 00000000D4D8: 85143C24
	v_readlane_b32 s82, v3, 29                                 // 00000000D4DC: D2890052 00013B03
	s_and_b32 s82, s82, 0xffffff                               // 00000000D4E4: 8652FF52 00FFFFFF
	s_cmp_lt_u32 s82, s66                                      // 00000000D4EC: BF0A4252
	s_cselect_b32 s21, s36, s60                                // 00000000D4F0: 85153C24
	s_mov_b64 exec, s[20:21]                                   // 00000000D4F4: BEFE0114
	global_atomic_add_f32 v6, v116, s[8:9]                     // 00000000D4F8: DD348000 00087406
	s_mov_b64 exec, s[36:37]                                   // 00000000D500: BEFE0124
	v_mov_b32_e32 v6, v81                                      // 00000000D504: 7E0C0351
	s_mov_b64 s[60:61], 0                                      // 00000000D508: BEBC0180
	v_readlane_b32 s82, v3, 30                                 // 00000000D50C: D2890052 00013D03
	s_and_b32 s82, s82, 0xffffff                               // 00000000D514: 8652FF52 00FFFFFF
	s_cmp_lt_u32 s82, s66                                      // 00000000D51C: BF0A4252
	s_cselect_b32 s20, s36, s60                                // 00000000D520: 85143C24
	v_readlane_b32 s82, v3, 31                                 // 00000000D524: D2890052 00013F03
	s_and_b32 s82, s82, 0xffffff                               // 00000000D52C: 8652FF52 00FFFFFF
	s_cmp_lt_u32 s82, s66                                      // 00000000D534: BF0A4252
	s_cselect_b32 s21, s36, s60                                // 00000000D538: 85153C24
	s_mov_b64 exec, s[20:21]                                   // 00000000D53C: BEFE0114
	global_atomic_add_f32 v6, v117, s[8:9]                     // 00000000D540: DD348000 00087506
	s_mov_b64 exec, s[36:37]                                   // 00000000D548: BEFE0124
	v_mov_b32_e32 v6, v82                                      // 00000000D54C: 7E0C0352
	s_mov_b64 s[60:61], 0                                      // 00000000D550: BEBC0180
	v_readlane_b32 s82, v3, 32                                 // 00000000D554: D2890052 00014103
	s_and_b32 s82, s82, 0xffffff                               // 00000000D55C: 8652FF52 00FFFFFF
	s_cmp_lt_u32 s82, s66                                      // 00000000D564: BF0A4252
	s_cselect_b32 s20, s36, s60                                // 00000000D568: 85143C24
	v_readlane_b32 s82, v3, 33                                 // 00000000D56C: D2890052 00014303
	s_and_b32 s82, s82, 0xffffff                               // 00000000D574: 8652FF52 00FFFFFF
	s_cmp_lt_u32 s82, s66                                      // 00000000D57C: BF0A4252
	s_cselect_b32 s21, s36, s60                                // 00000000D580: 85153C24
	s_mov_b64 exec, s[20:21]                                   // 00000000D584: BEFE0114
	global_atomic_add_f32 v6, v120, s[8:9]                     // 00000000D588: DD348000 00087806
	s_mov_b64 exec, s[36:37]                                   // 00000000D590: BEFE0124
	v_mov_b32_e32 v6, v83                                      // 00000000D594: 7E0C0353
	s_mov_b64 s[60:61], 0                                      // 00000000D598: BEBC0180
	v_readlane_b32 s82, v3, 34                                 // 00000000D59C: D2890052 00014503
	s_and_b32 s82, s82, 0xffffff                               // 00000000D5A4: 8652FF52 00FFFFFF
	s_cmp_lt_u32 s82, s66                                      // 00000000D5AC: BF0A4252
	s_cselect_b32 s20, s36, s60                                // 00000000D5B0: 85143C24
	v_readlane_b32 s82, v3, 35                                 // 00000000D5B4: D2890052 00014703
	s_and_b32 s82, s82, 0xffffff                               // 00000000D5BC: 8652FF52 00FFFFFF
	s_cmp_lt_u32 s82, s66                                      // 00000000D5C4: BF0A4252
	s_cselect_b32 s21, s36, s60                                // 00000000D5C8: 85153C24
	s_mov_b64 exec, s[20:21]                                   // 00000000D5CC: BEFE0114
	global_atomic_add_f32 v6, v121, s[8:9]                     // 00000000D5D0: DD348000 00087906
	s_mov_b64 exec, s[36:37]                                   // 00000000D5D8: BEFE0124
	ds_write_b64 v20, v[90:91]                                 // 00000000D5DC: D89A0000 00005A14
	ds_write_b64 v20, v[94:95] offset:2176                     // 00000000D5E4: D89A0880 00005E14
	ds_write_b64 v20, v[98:99] offset:4352                     // 00000000D5EC: D89A1100 00006214
	ds_write_b64 v20, v[102:103] offset:6528                   // 00000000D5F4: D89A1980 00006614
	ds_write_b64 v20, v[106:107] offset:8704                   // 00000000D5FC: D89A2200 00006A14
	ds_write_b64 v20, v[110:111] offset:10880                  // 00000000D604: D89A2A80 00006E14
	ds_write_b64 v20, v[114:115] offset:13056                  // 00000000D60C: D89A3300 00007214
	ds_write_b64 v20, v[118:119] offset:15232                  // 00000000D614: D89A3B80 00007614
	ds_write_b64 v20, v[122:123] offset:17408                  // 00000000D61C: D89A4400 00007A14
	s_waitcnt lgkmcnt(0)                                       // 00000000D624: BF8CC07F
	s_barrier                                                  // 00000000D628: BF8A0000
	ds_read_b32 v90, v21                                       // 00000000D62C: D86C0000 5A000015
	ds_read_b32 v91, v21 offset:64                             // 00000000D634: D86C0040 5B000015
	ds_read_b32 v94, v21 offset:2176                           // 00000000D63C: D86C0880 5E000015
	ds_read_b32 v95, v21 offset:2240                           // 00000000D644: D86C08C0 5F000015
	ds_read_b32 v98, v21 offset:4352                           // 00000000D64C: D86C1100 62000015
	ds_read_b32 v99, v21 offset:4416                           // 00000000D654: D86C1140 63000015
	ds_read_b32 v102, v21 offset:6528                          // 00000000D65C: D86C1980 66000015
	ds_read_b32 v103, v21 offset:6592                          // 00000000D664: D86C19C0 67000015
	ds_read_b32 v106, v21 offset:8704                          // 00000000D66C: D86C2200 6A000015
	ds_read_b32 v107, v21 offset:8768                          // 00000000D674: D86C2240 6B000015
	ds_read_b32 v110, v21 offset:10880                         // 00000000D67C: D86C2A80 6E000015
	ds_read_b32 v111, v21 offset:10944                         // 00000000D684: D86C2AC0 6F000015
	ds_read_b32 v114, v21 offset:13056                         // 00000000D68C: D86C3300 72000015
	ds_read_b32 v115, v21 offset:13120                         // 00000000D694: D86C3340 73000015
	ds_read_b32 v118, v21 offset:15232                         // 00000000D69C: D86C3B80 76000015
	ds_read_b32 v119, v21 offset:15296                         // 00000000D6A4: D86C3BC0 77000015
	ds_read_b32 v122, v21 offset:17408                         // 00000000D6AC: D86C4400 7A000015
	ds_read_b32 v123, v21 offset:17472                         // 00000000D6B4: D86C4440 7B000015
	s_waitcnt lgkmcnt(0)                                       // 00000000D6BC: BF8CC07F
	v_mov_b32_e32 v7, 0                                        // 00000000D6C0: 7E0E0280
	s_mov_b64 exec, s[36:37]                                   // 00000000D6C4: BEFE0124
	v_mov_b32_e32 v6, v66                                      // 00000000D6C8: 7E0C0342
	s_mov_b64 s[60:61], 0                                      // 00000000D6CC: BEBC0180
	v_readlane_b32 s82, v3, 0                                  // 00000000D6D0: D2890052 00010103
	s_and_b32 s82, s82, 0xffffff                               // 00000000D6D8: 8652FF52 00FFFFFF
	s_cmp_lt_u32 s82, s66                                      // 00000000D6E0: BF0A4252
	s_cselect_b32 s20, s36, s60                                // 00000000D6E4: 85143C24
	v_readlane_b32 s82, v3, 1                                  // 00000000D6E8: D2890052 00010303
	s_and_b32 s82, s82, 0xffffff                               // 00000000D6F0: 8652FF52 00FFFFFF
	s_cmp_lt_u32 s82, s66                                      // 00000000D6F8: BF0A4252
	s_cselect_b32 s21, s36, s60                                // 00000000D6FC: 85153C24
	s_mov_b64 exec, s[20:21]                                   // 00000000D700: BEFE0114
	global_atomic_add_f32 v6, v90, s[8:9] offset:8             // 00000000D704: DD348008 00085A06
	s_mov_b64 exec, s[36:37]                                   // 00000000D70C: BEFE0124
	v_mov_b32_e32 v6, v67                                      // 00000000D710: 7E0C0343
	s_mov_b64 s[60:61], 0                                      // 00000000D714: BEBC0180
	v_readlane_b32 s82, v3, 2                                  // 00000000D718: D2890052 00010503
	s_and_b32 s82, s82, 0xffffff                               // 00000000D720: 8652FF52 00FFFFFF
	s_cmp_lt_u32 s82, s66                                      // 00000000D728: BF0A4252
	s_cselect_b32 s20, s36, s60                                // 00000000D72C: 85143C24
	v_readlane_b32 s82, v3, 3                                  // 00000000D730: D2890052 00010703
	s_and_b32 s82, s82, 0xffffff                               // 00000000D738: 8652FF52 00FFFFFF
	s_cmp_lt_u32 s82, s66                                      // 00000000D740: BF0A4252
	s_cselect_b32 s21, s36, s60                                // 00000000D744: 85153C24
	s_mov_b64 exec, s[20:21]                                   // 00000000D748: BEFE0114
	global_atomic_add_f32 v6, v91, s[8:9] offset:8             // 00000000D74C: DD348008 00085B06
	s_mov_b64 exec, s[36:37]                                   // 00000000D754: BEFE0124
	v_mov_b32_e32 v6, v68                                      // 00000000D758: 7E0C0344
	s_mov_b64 s[60:61], 0                                      // 00000000D75C: BEBC0180
	v_readlane_b32 s82, v3, 4                                  // 00000000D760: D2890052 00010903
	s_and_b32 s82, s82, 0xffffff                               // 00000000D768: 8652FF52 00FFFFFF
	s_cmp_lt_u32 s82, s66                                      // 00000000D770: BF0A4252
	s_cselect_b32 s20, s36, s60                                // 00000000D774: 85143C24
	v_readlane_b32 s82, v3, 5                                  // 00000000D778: D2890052 00010B03
	s_and_b32 s82, s82, 0xffffff                               // 00000000D780: 8652FF52 00FFFFFF
	s_cmp_lt_u32 s82, s66                                      // 00000000D788: BF0A4252
	s_cselect_b32 s21, s36, s60                                // 00000000D78C: 85153C24
	s_mov_b64 exec, s[20:21]                                   // 00000000D790: BEFE0114
	global_atomic_add_f32 v6, v94, s[8:9] offset:8             // 00000000D794: DD348008 00085E06
	s_mov_b64 exec, s[36:37]                                   // 00000000D79C: BEFE0124
	v_mov_b32_e32 v6, v69                                      // 00000000D7A0: 7E0C0345
	s_mov_b64 s[60:61], 0                                      // 00000000D7A4: BEBC0180
	v_readlane_b32 s82, v3, 6                                  // 00000000D7A8: D2890052 00010D03
	s_and_b32 s82, s82, 0xffffff                               // 00000000D7B0: 8652FF52 00FFFFFF
	s_cmp_lt_u32 s82, s66                                      // 00000000D7B8: BF0A4252
	s_cselect_b32 s20, s36, s60                                // 00000000D7BC: 85143C24
	v_readlane_b32 s82, v3, 7                                  // 00000000D7C0: D2890052 00010F03
	s_and_b32 s82, s82, 0xffffff                               // 00000000D7C8: 8652FF52 00FFFFFF
	s_cmp_lt_u32 s82, s66                                      // 00000000D7D0: BF0A4252
	s_cselect_b32 s21, s36, s60                                // 00000000D7D4: 85153C24
	s_mov_b64 exec, s[20:21]                                   // 00000000D7D8: BEFE0114
	global_atomic_add_f32 v6, v95, s[8:9] offset:8             // 00000000D7DC: DD348008 00085F06
	s_mov_b64 exec, s[36:37]                                   // 00000000D7E4: BEFE0124
	v_mov_b32_e32 v6, v70                                      // 00000000D7E8: 7E0C0346
	s_mov_b64 s[60:61], 0                                      // 00000000D7EC: BEBC0180
	v_readlane_b32 s82, v3, 8                                  // 00000000D7F0: D2890052 00011103
	s_and_b32 s82, s82, 0xffffff                               // 00000000D7F8: 8652FF52 00FFFFFF
	s_cmp_lt_u32 s82, s66                                      // 00000000D800: BF0A4252
	s_cselect_b32 s20, s36, s60                                // 00000000D804: 85143C24
	v_readlane_b32 s82, v3, 9                                  // 00000000D808: D2890052 00011303
	s_and_b32 s82, s82, 0xffffff                               // 00000000D810: 8652FF52 00FFFFFF
	s_cmp_lt_u32 s82, s66                                      // 00000000D818: BF0A4252
	s_cselect_b32 s21, s36, s60                                // 00000000D81C: 85153C24
	s_mov_b64 exec, s[20:21]                                   // 00000000D820: BEFE0114
	global_atomic_add_f32 v6, v98, s[8:9] offset:8             // 00000000D824: DD348008 00086206
	s_mov_b64 exec, s[36:37]                                   // 00000000D82C: BEFE0124
	v_mov_b32_e32 v6, v71                                      // 00000000D830: 7E0C0347
	s_mov_b64 s[60:61], 0                                      // 00000000D834: BEBC0180
	v_readlane_b32 s82, v3, 10                                 // 00000000D838: D2890052 00011503
	s_and_b32 s82, s82, 0xffffff                               // 00000000D840: 8652FF52 00FFFFFF
	s_cmp_lt_u32 s82, s66                                      // 00000000D848: BF0A4252
	s_cselect_b32 s20, s36, s60                                // 00000000D84C: 85143C24
	v_readlane_b32 s82, v3, 11                                 // 00000000D850: D2890052 00011703
	s_and_b32 s82, s82, 0xffffff                               // 00000000D858: 8652FF52 00FFFFFF
	s_cmp_lt_u32 s82, s66                                      // 00000000D860: BF0A4252
	s_cselect_b32 s21, s36, s60                                // 00000000D864: 85153C24
	s_mov_b64 exec, s[20:21]                                   // 00000000D868: BEFE0114
	global_atomic_add_f32 v6, v99, s[8:9] offset:8             // 00000000D86C: DD348008 00086306
	s_mov_b64 exec, s[36:37]                                   // 00000000D874: BEFE0124
	v_mov_b32_e32 v6, v72                                      // 00000000D878: 7E0C0348
	s_mov_b64 s[60:61], 0                                      // 00000000D87C: BEBC0180
	v_readlane_b32 s82, v3, 12                                 // 00000000D880: D2890052 00011903
	s_and_b32 s82, s82, 0xffffff                               // 00000000D888: 8652FF52 00FFFFFF
	s_cmp_lt_u32 s82, s66                                      // 00000000D890: BF0A4252
	s_cselect_b32 s20, s36, s60                                // 00000000D894: 85143C24
	v_readlane_b32 s82, v3, 13                                 // 00000000D898: D2890052 00011B03
	s_and_b32 s82, s82, 0xffffff                               // 00000000D8A0: 8652FF52 00FFFFFF
	s_cmp_lt_u32 s82, s66                                      // 00000000D8A8: BF0A4252
	s_cselect_b32 s21, s36, s60                                // 00000000D8AC: 85153C24
	s_mov_b64 exec, s[20:21]                                   // 00000000D8B0: BEFE0114
	global_atomic_add_f32 v6, v102, s[8:9] offset:8            // 00000000D8B4: DD348008 00086606
	s_mov_b64 exec, s[36:37]                                   // 00000000D8BC: BEFE0124
	v_mov_b32_e32 v6, v73                                      // 00000000D8C0: 7E0C0349
	s_mov_b64 s[60:61], 0                                      // 00000000D8C4: BEBC0180
	v_readlane_b32 s82, v3, 14                                 // 00000000D8C8: D2890052 00011D03
	s_and_b32 s82, s82, 0xffffff                               // 00000000D8D0: 8652FF52 00FFFFFF
	s_cmp_lt_u32 s82, s66                                      // 00000000D8D8: BF0A4252
	s_cselect_b32 s20, s36, s60                                // 00000000D8DC: 85143C24
	v_readlane_b32 s82, v3, 15                                 // 00000000D8E0: D2890052 00011F03
	s_and_b32 s82, s82, 0xffffff                               // 00000000D8E8: 8652FF52 00FFFFFF
	s_cmp_lt_u32 s82, s66                                      // 00000000D8F0: BF0A4252
	s_cselect_b32 s21, s36, s60                                // 00000000D8F4: 85153C24
	s_mov_b64 exec, s[20:21]                                   // 00000000D8F8: BEFE0114
	global_atomic_add_f32 v6, v103, s[8:9] offset:8            // 00000000D8FC: DD348008 00086706
	s_mov_b64 exec, s[36:37]                                   // 00000000D904: BEFE0124
	v_mov_b32_e32 v6, v74                                      // 00000000D908: 7E0C034A
	s_mov_b64 s[60:61], 0                                      // 00000000D90C: BEBC0180
	v_readlane_b32 s82, v3, 16                                 // 00000000D910: D2890052 00012103
	s_and_b32 s82, s82, 0xffffff                               // 00000000D918: 8652FF52 00FFFFFF
	s_cmp_lt_u32 s82, s66                                      // 00000000D920: BF0A4252
	s_cselect_b32 s20, s36, s60                                // 00000000D924: 85143C24
	v_readlane_b32 s82, v3, 17                                 // 00000000D928: D2890052 00012303
	s_and_b32 s82, s82, 0xffffff                               // 00000000D930: 8652FF52 00FFFFFF
	s_cmp_lt_u32 s82, s66                                      // 00000000D938: BF0A4252
	s_cselect_b32 s21, s36, s60                                // 00000000D93C: 85153C24
	s_mov_b64 exec, s[20:21]                                   // 00000000D940: BEFE0114
	global_atomic_add_f32 v6, v106, s[8:9] offset:8            // 00000000D944: DD348008 00086A06
	s_mov_b64 exec, s[36:37]                                   // 00000000D94C: BEFE0124
	v_mov_b32_e32 v6, v75                                      // 00000000D950: 7E0C034B
	s_mov_b64 s[60:61], 0                                      // 00000000D954: BEBC0180
	v_readlane_b32 s82, v3, 18                                 // 00000000D958: D2890052 00012503
	s_and_b32 s82, s82, 0xffffff                               // 00000000D960: 8652FF52 00FFFFFF
	s_cmp_lt_u32 s82, s66                                      // 00000000D968: BF0A4252
	s_cselect_b32 s20, s36, s60                                // 00000000D96C: 85143C24
	v_readlane_b32 s82, v3, 19                                 // 00000000D970: D2890052 00012703
	s_and_b32 s82, s82, 0xffffff                               // 00000000D978: 8652FF52 00FFFFFF
	s_cmp_lt_u32 s82, s66                                      // 00000000D980: BF0A4252
	s_cselect_b32 s21, s36, s60                                // 00000000D984: 85153C24
	s_mov_b64 exec, s[20:21]                                   // 00000000D988: BEFE0114
	global_atomic_add_f32 v6, v107, s[8:9] offset:8            // 00000000D98C: DD348008 00086B06
	s_mov_b64 exec, s[36:37]                                   // 00000000D994: BEFE0124
	v_mov_b32_e32 v6, v76                                      // 00000000D998: 7E0C034C
	s_mov_b64 s[60:61], 0                                      // 00000000D99C: BEBC0180
	v_readlane_b32 s82, v3, 20                                 // 00000000D9A0: D2890052 00012903
	s_and_b32 s82, s82, 0xffffff                               // 00000000D9A8: 8652FF52 00FFFFFF
	s_cmp_lt_u32 s82, s66                                      // 00000000D9B0: BF0A4252
	s_cselect_b32 s20, s36, s60                                // 00000000D9B4: 85143C24
	v_readlane_b32 s82, v3, 21                                 // 00000000D9B8: D2890052 00012B03
	s_and_b32 s82, s82, 0xffffff                               // 00000000D9C0: 8652FF52 00FFFFFF
	s_cmp_lt_u32 s82, s66                                      // 00000000D9C8: BF0A4252
	s_cselect_b32 s21, s36, s60                                // 00000000D9CC: 85153C24
	s_mov_b64 exec, s[20:21]                                   // 00000000D9D0: BEFE0114
	global_atomic_add_f32 v6, v110, s[8:9] offset:8            // 00000000D9D4: DD348008 00086E06
	s_mov_b64 exec, s[36:37]                                   // 00000000D9DC: BEFE0124
	v_mov_b32_e32 v6, v77                                      // 00000000D9E0: 7E0C034D
	s_mov_b64 s[60:61], 0                                      // 00000000D9E4: BEBC0180
	v_readlane_b32 s82, v3, 22                                 // 00000000D9E8: D2890052 00012D03
	s_and_b32 s82, s82, 0xffffff                               // 00000000D9F0: 8652FF52 00FFFFFF
	s_cmp_lt_u32 s82, s66                                      // 00000000D9F8: BF0A4252
	s_cselect_b32 s20, s36, s60                                // 00000000D9FC: 85143C24
	v_readlane_b32 s82, v3, 23                                 // 00000000DA00: D2890052 00012F03
	s_and_b32 s82, s82, 0xffffff                               // 00000000DA08: 8652FF52 00FFFFFF
	s_cmp_lt_u32 s82, s66                                      // 00000000DA10: BF0A4252
	s_cselect_b32 s21, s36, s60                                // 00000000DA14: 85153C24
	s_mov_b64 exec, s[20:21]                                   // 00000000DA18: BEFE0114
	global_atomic_add_f32 v6, v111, s[8:9] offset:8            // 00000000DA1C: DD348008 00086F06
	s_mov_b64 exec, s[36:37]                                   // 00000000DA24: BEFE0124
	v_mov_b32_e32 v6, v78                                      // 00000000DA28: 7E0C034E
	s_mov_b64 s[60:61], 0                                      // 00000000DA2C: BEBC0180
	v_readlane_b32 s82, v3, 24                                 // 00000000DA30: D2890052 00013103
	s_and_b32 s82, s82, 0xffffff                               // 00000000DA38: 8652FF52 00FFFFFF
	s_cmp_lt_u32 s82, s66                                      // 00000000DA40: BF0A4252
	s_cselect_b32 s20, s36, s60                                // 00000000DA44: 85143C24
	v_readlane_b32 s82, v3, 25                                 // 00000000DA48: D2890052 00013303
	s_and_b32 s82, s82, 0xffffff                               // 00000000DA50: 8652FF52 00FFFFFF
	s_cmp_lt_u32 s82, s66                                      // 00000000DA58: BF0A4252
	s_cselect_b32 s21, s36, s60                                // 00000000DA5C: 85153C24
	s_mov_b64 exec, s[20:21]                                   // 00000000DA60: BEFE0114
	global_atomic_add_f32 v6, v114, s[8:9] offset:8            // 00000000DA64: DD348008 00087206
	s_mov_b64 exec, s[36:37]                                   // 00000000DA6C: BEFE0124
	v_mov_b32_e32 v6, v79                                      // 00000000DA70: 7E0C034F
	s_mov_b64 s[60:61], 0                                      // 00000000DA74: BEBC0180
	v_readlane_b32 s82, v3, 26                                 // 00000000DA78: D2890052 00013503
	s_and_b32 s82, s82, 0xffffff                               // 00000000DA80: 8652FF52 00FFFFFF
	s_cmp_lt_u32 s82, s66                                      // 00000000DA88: BF0A4252
	s_cselect_b32 s20, s36, s60                                // 00000000DA8C: 85143C24
	v_readlane_b32 s82, v3, 27                                 // 00000000DA90: D2890052 00013703
	s_and_b32 s82, s82, 0xffffff                               // 00000000DA98: 8652FF52 00FFFFFF
	s_cmp_lt_u32 s82, s66                                      // 00000000DAA0: BF0A4252
	s_cselect_b32 s21, s36, s60                                // 00000000DAA4: 85153C24
	s_mov_b64 exec, s[20:21]                                   // 00000000DAA8: BEFE0114
	global_atomic_add_f32 v6, v115, s[8:9] offset:8            // 00000000DAAC: DD348008 00087306
	s_mov_b64 exec, s[36:37]                                   // 00000000DAB4: BEFE0124
	v_mov_b32_e32 v6, v80                                      // 00000000DAB8: 7E0C0350
	s_mov_b64 s[60:61], 0                                      // 00000000DABC: BEBC0180
	v_readlane_b32 s82, v3, 28                                 // 00000000DAC0: D2890052 00013903
	s_and_b32 s82, s82, 0xffffff                               // 00000000DAC8: 8652FF52 00FFFFFF
	s_cmp_lt_u32 s82, s66                                      // 00000000DAD0: BF0A4252
	s_cselect_b32 s20, s36, s60                                // 00000000DAD4: 85143C24
	v_readlane_b32 s82, v3, 29                                 // 00000000DAD8: D2890052 00013B03
	s_and_b32 s82, s82, 0xffffff                               // 00000000DAE0: 8652FF52 00FFFFFF
	s_cmp_lt_u32 s82, s66                                      // 00000000DAE8: BF0A4252
	s_cselect_b32 s21, s36, s60                                // 00000000DAEC: 85153C24
	s_mov_b64 exec, s[20:21]                                   // 00000000DAF0: BEFE0114
	global_atomic_add_f32 v6, v118, s[8:9] offset:8            // 00000000DAF4: DD348008 00087606
	s_mov_b64 exec, s[36:37]                                   // 00000000DAFC: BEFE0124
	v_mov_b32_e32 v6, v81                                      // 00000000DB00: 7E0C0351
	s_mov_b64 s[60:61], 0                                      // 00000000DB04: BEBC0180
	v_readlane_b32 s82, v3, 30                                 // 00000000DB08: D2890052 00013D03
	s_and_b32 s82, s82, 0xffffff                               // 00000000DB10: 8652FF52 00FFFFFF
	s_cmp_lt_u32 s82, s66                                      // 00000000DB18: BF0A4252
	s_cselect_b32 s20, s36, s60                                // 00000000DB1C: 85143C24
	v_readlane_b32 s82, v3, 31                                 // 00000000DB20: D2890052 00013F03
	s_and_b32 s82, s82, 0xffffff                               // 00000000DB28: 8652FF52 00FFFFFF
	s_cmp_lt_u32 s82, s66                                      // 00000000DB30: BF0A4252
	s_cselect_b32 s21, s36, s60                                // 00000000DB34: 85153C24
	s_mov_b64 exec, s[20:21]                                   // 00000000DB38: BEFE0114
	global_atomic_add_f32 v6, v119, s[8:9] offset:8            // 00000000DB3C: DD348008 00087706
	s_mov_b64 exec, s[36:37]                                   // 00000000DB44: BEFE0124
	v_mov_b32_e32 v6, v82                                      // 00000000DB48: 7E0C0352
	s_mov_b64 s[60:61], 0                                      // 00000000DB4C: BEBC0180
	v_readlane_b32 s82, v3, 32                                 // 00000000DB50: D2890052 00014103
	s_and_b32 s82, s82, 0xffffff                               // 00000000DB58: 8652FF52 00FFFFFF
	s_cmp_lt_u32 s82, s66                                      // 00000000DB60: BF0A4252
	s_cselect_b32 s20, s36, s60                                // 00000000DB64: 85143C24
	v_readlane_b32 s82, v3, 33                                 // 00000000DB68: D2890052 00014303
	s_and_b32 s82, s82, 0xffffff                               // 00000000DB70: 8652FF52 00FFFFFF
	s_cmp_lt_u32 s82, s66                                      // 00000000DB78: BF0A4252
	s_cselect_b32 s21, s36, s60                                // 00000000DB7C: 85153C24
	s_mov_b64 exec, s[20:21]                                   // 00000000DB80: BEFE0114
	global_atomic_add_f32 v6, v122, s[8:9] offset:8            // 00000000DB84: DD348008 00087A06
	s_mov_b64 exec, s[36:37]                                   // 00000000DB8C: BEFE0124
	v_mov_b32_e32 v6, v83                                      // 00000000DB90: 7E0C0353
	s_mov_b64 s[60:61], 0                                      // 00000000DB94: BEBC0180
	v_readlane_b32 s82, v3, 34                                 // 00000000DB98: D2890052 00014503
	s_and_b32 s82, s82, 0xffffff                               // 00000000DBA0: 8652FF52 00FFFFFF
	s_cmp_lt_u32 s82, s66                                      // 00000000DBA8: BF0A4252
	s_cselect_b32 s20, s36, s60                                // 00000000DBAC: 85143C24
	v_readlane_b32 s82, v3, 35                                 // 00000000DBB0: D2890052 00014703
	s_and_b32 s82, s82, 0xffffff                               // 00000000DBB8: 8652FF52 00FFFFFF
	s_cmp_lt_u32 s82, s66                                      // 00000000DBC0: BF0A4252
	s_cselect_b32 s21, s36, s60                                // 00000000DBC4: 85153C24
	s_mov_b64 exec, s[20:21]                                   // 00000000DBC8: BEFE0114
	global_atomic_add_f32 v6, v123, s[8:9] offset:8            // 00000000DBCC: DD348008 00087B06
	s_mov_b64 exec, s[36:37]                                   // 00000000DBD4: BEFE0124
	ds_write_b64 v20, v[124:125]                               // 00000000DBD8: D89A0000 00007C14
	ds_write_b64 v20, v[128:129] offset:2176                   // 00000000DBE0: D89A0880 00008014
	ds_write_b64 v20, v[132:133] offset:4352                   // 00000000DBE8: D89A1100 00008414
	ds_write_b64 v20, v[136:137] offset:6528                   // 00000000DBF0: D89A1980 00008814
	ds_write_b64 v20, v[140:141] offset:8704                   // 00000000DBF8: D89A2200 00008C14
	ds_write_b64 v20, v[144:145] offset:10880                  // 00000000DC00: D89A2A80 00009014
	ds_write_b64 v20, v[148:149] offset:13056                  // 00000000DC08: D89A3300 00009414
	ds_write_b64 v20, v[152:153] offset:15232                  // 00000000DC10: D89A3B80 00009814
	ds_write_b64 v20, v[156:157] offset:17408                  // 00000000DC18: D89A4400 00009C14
	s_waitcnt lgkmcnt(0)                                       // 00000000DC20: BF8CC07F
	s_barrier                                                  // 00000000DC24: BF8A0000
	ds_read_b32 v124, v21                                      // 00000000DC28: D86C0000 7C000015
	ds_read_b32 v125, v21 offset:64                            // 00000000DC30: D86C0040 7D000015
	ds_read_b32 v128, v21 offset:2176                          // 00000000DC38: D86C0880 80000015
	ds_read_b32 v129, v21 offset:2240                          // 00000000DC40: D86C08C0 81000015
	ds_read_b32 v132, v21 offset:4352                          // 00000000DC48: D86C1100 84000015
	ds_read_b32 v133, v21 offset:4416                          // 00000000DC50: D86C1140 85000015
	ds_read_b32 v136, v21 offset:6528                          // 00000000DC58: D86C1980 88000015
	ds_read_b32 v137, v21 offset:6592                          // 00000000DC60: D86C19C0 89000015
	ds_read_b32 v140, v21 offset:8704                          // 00000000DC68: D86C2200 8C000015
	ds_read_b32 v141, v21 offset:8768                          // 00000000DC70: D86C2240 8D000015
	ds_read_b32 v144, v21 offset:10880                         // 00000000DC78: D86C2A80 90000015
	ds_read_b32 v145, v21 offset:10944                         // 00000000DC80: D86C2AC0 91000015
	ds_read_b32 v148, v21 offset:13056                         // 00000000DC88: D86C3300 94000015
	ds_read_b32 v149, v21 offset:13120                         // 00000000DC90: D86C3340 95000015
	ds_read_b32 v152, v21 offset:15232                         // 00000000DC98: D86C3B80 98000015
	ds_read_b32 v153, v21 offset:15296                         // 00000000DCA0: D86C3BC0 99000015
	ds_read_b32 v156, v21 offset:17408                         // 00000000DCA8: D86C4400 9C000015
	ds_read_b32 v157, v21 offset:17472                         // 00000000DCB0: D86C4440 9D000015
	s_mul_i32 s60, s65, 4                                      // 00000000DCB8: 923C8441
	s_add_u32 s8, s60, s8                                      // 00000000DCBC: 8008083C
	s_addc_u32 s9, 0, s9                                       // 00000000DCC0: 82090980
	s_waitcnt lgkmcnt(0)                                       // 00000000DCC4: BF8CC07F
	v_mov_b32_e32 v7, 0                                        // 00000000DCC8: 7E0E0280
	s_mov_b64 exec, s[36:37]                                   // 00000000DCCC: BEFE0124
	v_mov_b32_e32 v6, v66                                      // 00000000DCD0: 7E0C0342
	s_mov_b64 s[60:61], 0                                      // 00000000DCD4: BEBC0180
	v_readlane_b32 s82, v3, 0                                  // 00000000DCD8: D2890052 00010103
	s_and_b32 s82, s82, 0xffffff                               // 00000000DCE0: 8652FF52 00FFFFFF
	s_cmp_lt_u32 s82, s66                                      // 00000000DCE8: BF0A4252
	s_cselect_b32 s20, s36, s60                                // 00000000DCEC: 85143C24
	v_readlane_b32 s82, v3, 1                                  // 00000000DCF0: D2890052 00010303
	s_and_b32 s82, s82, 0xffffff                               // 00000000DCF8: 8652FF52 00FFFFFF
	s_cmp_lt_u32 s82, s66                                      // 00000000DD00: BF0A4252
	s_cselect_b32 s21, s36, s60                                // 00000000DD04: 85153C24
	s_mov_b64 exec, s[20:21]                                   // 00000000DD08: BEFE0114
	global_atomic_add_f32 v6, v124, s[8:9]                     // 00000000DD0C: DD348000 00087C06
	s_mov_b64 exec, s[36:37]                                   // 00000000DD14: BEFE0124
	v_mov_b32_e32 v6, v67                                      // 00000000DD18: 7E0C0343
	s_mov_b64 s[60:61], 0                                      // 00000000DD1C: BEBC0180
	v_readlane_b32 s82, v3, 2                                  // 00000000DD20: D2890052 00010503
	s_and_b32 s82, s82, 0xffffff                               // 00000000DD28: 8652FF52 00FFFFFF
	s_cmp_lt_u32 s82, s66                                      // 00000000DD30: BF0A4252
	s_cselect_b32 s20, s36, s60                                // 00000000DD34: 85143C24
	v_readlane_b32 s82, v3, 3                                  // 00000000DD38: D2890052 00010703
	s_and_b32 s82, s82, 0xffffff                               // 00000000DD40: 8652FF52 00FFFFFF
	s_cmp_lt_u32 s82, s66                                      // 00000000DD48: BF0A4252
	s_cselect_b32 s21, s36, s60                                // 00000000DD4C: 85153C24
	s_mov_b64 exec, s[20:21]                                   // 00000000DD50: BEFE0114
	global_atomic_add_f32 v6, v125, s[8:9]                     // 00000000DD54: DD348000 00087D06
	s_mov_b64 exec, s[36:37]                                   // 00000000DD5C: BEFE0124
	v_mov_b32_e32 v6, v68                                      // 00000000DD60: 7E0C0344
	s_mov_b64 s[60:61], 0                                      // 00000000DD64: BEBC0180
	v_readlane_b32 s82, v3, 4                                  // 00000000DD68: D2890052 00010903
	s_and_b32 s82, s82, 0xffffff                               // 00000000DD70: 8652FF52 00FFFFFF
	s_cmp_lt_u32 s82, s66                                      // 00000000DD78: BF0A4252
	s_cselect_b32 s20, s36, s60                                // 00000000DD7C: 85143C24
	v_readlane_b32 s82, v3, 5                                  // 00000000DD80: D2890052 00010B03
	s_and_b32 s82, s82, 0xffffff                               // 00000000DD88: 8652FF52 00FFFFFF
	s_cmp_lt_u32 s82, s66                                      // 00000000DD90: BF0A4252
	s_cselect_b32 s21, s36, s60                                // 00000000DD94: 85153C24
	s_mov_b64 exec, s[20:21]                                   // 00000000DD98: BEFE0114
	global_atomic_add_f32 v6, v128, s[8:9]                     // 00000000DD9C: DD348000 00088006
	s_mov_b64 exec, s[36:37]                                   // 00000000DDA4: BEFE0124
	v_mov_b32_e32 v6, v69                                      // 00000000DDA8: 7E0C0345
	s_mov_b64 s[60:61], 0                                      // 00000000DDAC: BEBC0180
	v_readlane_b32 s82, v3, 6                                  // 00000000DDB0: D2890052 00010D03
	s_and_b32 s82, s82, 0xffffff                               // 00000000DDB8: 8652FF52 00FFFFFF
	s_cmp_lt_u32 s82, s66                                      // 00000000DDC0: BF0A4252
	s_cselect_b32 s20, s36, s60                                // 00000000DDC4: 85143C24
	v_readlane_b32 s82, v3, 7                                  // 00000000DDC8: D2890052 00010F03
	s_and_b32 s82, s82, 0xffffff                               // 00000000DDD0: 8652FF52 00FFFFFF
	s_cmp_lt_u32 s82, s66                                      // 00000000DDD8: BF0A4252
	s_cselect_b32 s21, s36, s60                                // 00000000DDDC: 85153C24
	s_mov_b64 exec, s[20:21]                                   // 00000000DDE0: BEFE0114
	global_atomic_add_f32 v6, v129, s[8:9]                     // 00000000DDE4: DD348000 00088106
	s_mov_b64 exec, s[36:37]                                   // 00000000DDEC: BEFE0124
	v_mov_b32_e32 v6, v70                                      // 00000000DDF0: 7E0C0346
	s_mov_b64 s[60:61], 0                                      // 00000000DDF4: BEBC0180
	v_readlane_b32 s82, v3, 8                                  // 00000000DDF8: D2890052 00011103
	s_and_b32 s82, s82, 0xffffff                               // 00000000DE00: 8652FF52 00FFFFFF
	s_cmp_lt_u32 s82, s66                                      // 00000000DE08: BF0A4252
	s_cselect_b32 s20, s36, s60                                // 00000000DE0C: 85143C24
	v_readlane_b32 s82, v3, 9                                  // 00000000DE10: D2890052 00011303
	s_and_b32 s82, s82, 0xffffff                               // 00000000DE18: 8652FF52 00FFFFFF
	s_cmp_lt_u32 s82, s66                                      // 00000000DE20: BF0A4252
	s_cselect_b32 s21, s36, s60                                // 00000000DE24: 85153C24
	s_mov_b64 exec, s[20:21]                                   // 00000000DE28: BEFE0114
	global_atomic_add_f32 v6, v132, s[8:9]                     // 00000000DE2C: DD348000 00088406
	s_mov_b64 exec, s[36:37]                                   // 00000000DE34: BEFE0124
	v_mov_b32_e32 v6, v71                                      // 00000000DE38: 7E0C0347
	s_mov_b64 s[60:61], 0                                      // 00000000DE3C: BEBC0180
	v_readlane_b32 s82, v3, 10                                 // 00000000DE40: D2890052 00011503
	s_and_b32 s82, s82, 0xffffff                               // 00000000DE48: 8652FF52 00FFFFFF
	s_cmp_lt_u32 s82, s66                                      // 00000000DE50: BF0A4252
	s_cselect_b32 s20, s36, s60                                // 00000000DE54: 85143C24
	v_readlane_b32 s82, v3, 11                                 // 00000000DE58: D2890052 00011703
	s_and_b32 s82, s82, 0xffffff                               // 00000000DE60: 8652FF52 00FFFFFF
	s_cmp_lt_u32 s82, s66                                      // 00000000DE68: BF0A4252
	s_cselect_b32 s21, s36, s60                                // 00000000DE6C: 85153C24
	s_mov_b64 exec, s[20:21]                                   // 00000000DE70: BEFE0114
	global_atomic_add_f32 v6, v133, s[8:9]                     // 00000000DE74: DD348000 00088506
	s_mov_b64 exec, s[36:37]                                   // 00000000DE7C: BEFE0124
	v_mov_b32_e32 v6, v72                                      // 00000000DE80: 7E0C0348
	s_mov_b64 s[60:61], 0                                      // 00000000DE84: BEBC0180
	v_readlane_b32 s82, v3, 12                                 // 00000000DE88: D2890052 00011903
	s_and_b32 s82, s82, 0xffffff                               // 00000000DE90: 8652FF52 00FFFFFF
	s_cmp_lt_u32 s82, s66                                      // 00000000DE98: BF0A4252
	s_cselect_b32 s20, s36, s60                                // 00000000DE9C: 85143C24
	v_readlane_b32 s82, v3, 13                                 // 00000000DEA0: D2890052 00011B03
	s_and_b32 s82, s82, 0xffffff                               // 00000000DEA8: 8652FF52 00FFFFFF
	s_cmp_lt_u32 s82, s66                                      // 00000000DEB0: BF0A4252
	s_cselect_b32 s21, s36, s60                                // 00000000DEB4: 85153C24
	s_mov_b64 exec, s[20:21]                                   // 00000000DEB8: BEFE0114
	global_atomic_add_f32 v6, v136, s[8:9]                     // 00000000DEBC: DD348000 00088806
	s_mov_b64 exec, s[36:37]                                   // 00000000DEC4: BEFE0124
	v_mov_b32_e32 v6, v73                                      // 00000000DEC8: 7E0C0349
	s_mov_b64 s[60:61], 0                                      // 00000000DECC: BEBC0180
	v_readlane_b32 s82, v3, 14                                 // 00000000DED0: D2890052 00011D03
	s_and_b32 s82, s82, 0xffffff                               // 00000000DED8: 8652FF52 00FFFFFF
	s_cmp_lt_u32 s82, s66                                      // 00000000DEE0: BF0A4252
	s_cselect_b32 s20, s36, s60                                // 00000000DEE4: 85143C24
	v_readlane_b32 s82, v3, 15                                 // 00000000DEE8: D2890052 00011F03
	s_and_b32 s82, s82, 0xffffff                               // 00000000DEF0: 8652FF52 00FFFFFF
	s_cmp_lt_u32 s82, s66                                      // 00000000DEF8: BF0A4252
	s_cselect_b32 s21, s36, s60                                // 00000000DEFC: 85153C24
	s_mov_b64 exec, s[20:21]                                   // 00000000DF00: BEFE0114
	global_atomic_add_f32 v6, v137, s[8:9]                     // 00000000DF04: DD348000 00088906
	s_mov_b64 exec, s[36:37]                                   // 00000000DF0C: BEFE0124
	v_mov_b32_e32 v6, v74                                      // 00000000DF10: 7E0C034A
	s_mov_b64 s[60:61], 0                                      // 00000000DF14: BEBC0180
	v_readlane_b32 s82, v3, 16                                 // 00000000DF18: D2890052 00012103
	s_and_b32 s82, s82, 0xffffff                               // 00000000DF20: 8652FF52 00FFFFFF
	s_cmp_lt_u32 s82, s66                                      // 00000000DF28: BF0A4252
	s_cselect_b32 s20, s36, s60                                // 00000000DF2C: 85143C24
	v_readlane_b32 s82, v3, 17                                 // 00000000DF30: D2890052 00012303
	s_and_b32 s82, s82, 0xffffff                               // 00000000DF38: 8652FF52 00FFFFFF
	s_cmp_lt_u32 s82, s66                                      // 00000000DF40: BF0A4252
	s_cselect_b32 s21, s36, s60                                // 00000000DF44: 85153C24
	s_mov_b64 exec, s[20:21]                                   // 00000000DF48: BEFE0114
	global_atomic_add_f32 v6, v140, s[8:9]                     // 00000000DF4C: DD348000 00088C06
	s_mov_b64 exec, s[36:37]                                   // 00000000DF54: BEFE0124
	v_mov_b32_e32 v6, v75                                      // 00000000DF58: 7E0C034B
	s_mov_b64 s[60:61], 0                                      // 00000000DF5C: BEBC0180
	v_readlane_b32 s82, v3, 18                                 // 00000000DF60: D2890052 00012503
	s_and_b32 s82, s82, 0xffffff                               // 00000000DF68: 8652FF52 00FFFFFF
	s_cmp_lt_u32 s82, s66                                      // 00000000DF70: BF0A4252
	s_cselect_b32 s20, s36, s60                                // 00000000DF74: 85143C24
	v_readlane_b32 s82, v3, 19                                 // 00000000DF78: D2890052 00012703
	s_and_b32 s82, s82, 0xffffff                               // 00000000DF80: 8652FF52 00FFFFFF
	s_cmp_lt_u32 s82, s66                                      // 00000000DF88: BF0A4252
	s_cselect_b32 s21, s36, s60                                // 00000000DF8C: 85153C24
	s_mov_b64 exec, s[20:21]                                   // 00000000DF90: BEFE0114
	global_atomic_add_f32 v6, v141, s[8:9]                     // 00000000DF94: DD348000 00088D06
	s_mov_b64 exec, s[36:37]                                   // 00000000DF9C: BEFE0124
	v_mov_b32_e32 v6, v76                                      // 00000000DFA0: 7E0C034C
	s_mov_b64 s[60:61], 0                                      // 00000000DFA4: BEBC0180
	v_readlane_b32 s82, v3, 20                                 // 00000000DFA8: D2890052 00012903
	s_and_b32 s82, s82, 0xffffff                               // 00000000DFB0: 8652FF52 00FFFFFF
	s_cmp_lt_u32 s82, s66                                      // 00000000DFB8: BF0A4252
	s_cselect_b32 s20, s36, s60                                // 00000000DFBC: 85143C24
	v_readlane_b32 s82, v3, 21                                 // 00000000DFC0: D2890052 00012B03
	s_and_b32 s82, s82, 0xffffff                               // 00000000DFC8: 8652FF52 00FFFFFF
	s_cmp_lt_u32 s82, s66                                      // 00000000DFD0: BF0A4252
	s_cselect_b32 s21, s36, s60                                // 00000000DFD4: 85153C24
	s_mov_b64 exec, s[20:21]                                   // 00000000DFD8: BEFE0114
	global_atomic_add_f32 v6, v144, s[8:9]                     // 00000000DFDC: DD348000 00089006
	s_mov_b64 exec, s[36:37]                                   // 00000000DFE4: BEFE0124
	v_mov_b32_e32 v6, v77                                      // 00000000DFE8: 7E0C034D
	s_mov_b64 s[60:61], 0                                      // 00000000DFEC: BEBC0180
	v_readlane_b32 s82, v3, 22                                 // 00000000DFF0: D2890052 00012D03
	s_and_b32 s82, s82, 0xffffff                               // 00000000DFF8: 8652FF52 00FFFFFF
	s_cmp_lt_u32 s82, s66                                      // 00000000E000: BF0A4252
	s_cselect_b32 s20, s36, s60                                // 00000000E004: 85143C24
	v_readlane_b32 s82, v3, 23                                 // 00000000E008: D2890052 00012F03
	s_and_b32 s82, s82, 0xffffff                               // 00000000E010: 8652FF52 00FFFFFF
	s_cmp_lt_u32 s82, s66                                      // 00000000E018: BF0A4252
	s_cselect_b32 s21, s36, s60                                // 00000000E01C: 85153C24
	s_mov_b64 exec, s[20:21]                                   // 00000000E020: BEFE0114
	global_atomic_add_f32 v6, v145, s[8:9]                     // 00000000E024: DD348000 00089106
	s_mov_b64 exec, s[36:37]                                   // 00000000E02C: BEFE0124
	v_mov_b32_e32 v6, v78                                      // 00000000E030: 7E0C034E
	s_mov_b64 s[60:61], 0                                      // 00000000E034: BEBC0180
	v_readlane_b32 s82, v3, 24                                 // 00000000E038: D2890052 00013103
	s_and_b32 s82, s82, 0xffffff                               // 00000000E040: 8652FF52 00FFFFFF
	s_cmp_lt_u32 s82, s66                                      // 00000000E048: BF0A4252
	s_cselect_b32 s20, s36, s60                                // 00000000E04C: 85143C24
	v_readlane_b32 s82, v3, 25                                 // 00000000E050: D2890052 00013303
	s_and_b32 s82, s82, 0xffffff                               // 00000000E058: 8652FF52 00FFFFFF
	s_cmp_lt_u32 s82, s66                                      // 00000000E060: BF0A4252
	s_cselect_b32 s21, s36, s60                                // 00000000E064: 85153C24
	s_mov_b64 exec, s[20:21]                                   // 00000000E068: BEFE0114
	global_atomic_add_f32 v6, v148, s[8:9]                     // 00000000E06C: DD348000 00089406
	s_mov_b64 exec, s[36:37]                                   // 00000000E074: BEFE0124
	v_mov_b32_e32 v6, v79                                      // 00000000E078: 7E0C034F
	s_mov_b64 s[60:61], 0                                      // 00000000E07C: BEBC0180
	v_readlane_b32 s82, v3, 26                                 // 00000000E080: D2890052 00013503
	s_and_b32 s82, s82, 0xffffff                               // 00000000E088: 8652FF52 00FFFFFF
	s_cmp_lt_u32 s82, s66                                      // 00000000E090: BF0A4252
	s_cselect_b32 s20, s36, s60                                // 00000000E094: 85143C24
	v_readlane_b32 s82, v3, 27                                 // 00000000E098: D2890052 00013703
	s_and_b32 s82, s82, 0xffffff                               // 00000000E0A0: 8652FF52 00FFFFFF
	s_cmp_lt_u32 s82, s66                                      // 00000000E0A8: BF0A4252
	s_cselect_b32 s21, s36, s60                                // 00000000E0AC: 85153C24
	s_mov_b64 exec, s[20:21]                                   // 00000000E0B0: BEFE0114
	global_atomic_add_f32 v6, v149, s[8:9]                     // 00000000E0B4: DD348000 00089506
	s_mov_b64 exec, s[36:37]                                   // 00000000E0BC: BEFE0124
	v_mov_b32_e32 v6, v80                                      // 00000000E0C0: 7E0C0350
	s_mov_b64 s[60:61], 0                                      // 00000000E0C4: BEBC0180
	v_readlane_b32 s82, v3, 28                                 // 00000000E0C8: D2890052 00013903
	s_and_b32 s82, s82, 0xffffff                               // 00000000E0D0: 8652FF52 00FFFFFF
	s_cmp_lt_u32 s82, s66                                      // 00000000E0D8: BF0A4252
	s_cselect_b32 s20, s36, s60                                // 00000000E0DC: 85143C24
	v_readlane_b32 s82, v3, 29                                 // 00000000E0E0: D2890052 00013B03
	s_and_b32 s82, s82, 0xffffff                               // 00000000E0E8: 8652FF52 00FFFFFF
	s_cmp_lt_u32 s82, s66                                      // 00000000E0F0: BF0A4252
	s_cselect_b32 s21, s36, s60                                // 00000000E0F4: 85153C24
	s_mov_b64 exec, s[20:21]                                   // 00000000E0F8: BEFE0114
	global_atomic_add_f32 v6, v152, s[8:9]                     // 00000000E0FC: DD348000 00089806
	s_mov_b64 exec, s[36:37]                                   // 00000000E104: BEFE0124
	v_mov_b32_e32 v6, v81                                      // 00000000E108: 7E0C0351
	s_mov_b64 s[60:61], 0                                      // 00000000E10C: BEBC0180
	v_readlane_b32 s82, v3, 30                                 // 00000000E110: D2890052 00013D03
	s_and_b32 s82, s82, 0xffffff                               // 00000000E118: 8652FF52 00FFFFFF
	s_cmp_lt_u32 s82, s66                                      // 00000000E120: BF0A4252
	s_cselect_b32 s20, s36, s60                                // 00000000E124: 85143C24
	v_readlane_b32 s82, v3, 31                                 // 00000000E128: D2890052 00013F03
	s_and_b32 s82, s82, 0xffffff                               // 00000000E130: 8652FF52 00FFFFFF
	s_cmp_lt_u32 s82, s66                                      // 00000000E138: BF0A4252
	s_cselect_b32 s21, s36, s60                                // 00000000E13C: 85153C24
	s_mov_b64 exec, s[20:21]                                   // 00000000E140: BEFE0114
	global_atomic_add_f32 v6, v153, s[8:9]                     // 00000000E144: DD348000 00089906
	s_mov_b64 exec, s[36:37]                                   // 00000000E14C: BEFE0124
	v_mov_b32_e32 v6, v82                                      // 00000000E150: 7E0C0352
	s_mov_b64 s[60:61], 0                                      // 00000000E154: BEBC0180
	v_readlane_b32 s82, v3, 32                                 // 00000000E158: D2890052 00014103
	s_and_b32 s82, s82, 0xffffff                               // 00000000E160: 8652FF52 00FFFFFF
	s_cmp_lt_u32 s82, s66                                      // 00000000E168: BF0A4252
	s_cselect_b32 s20, s36, s60                                // 00000000E16C: 85143C24
	v_readlane_b32 s82, v3, 33                                 // 00000000E170: D2890052 00014303
	s_and_b32 s82, s82, 0xffffff                               // 00000000E178: 8652FF52 00FFFFFF
	s_cmp_lt_u32 s82, s66                                      // 00000000E180: BF0A4252
	s_cselect_b32 s21, s36, s60                                // 00000000E184: 85153C24
	s_mov_b64 exec, s[20:21]                                   // 00000000E188: BEFE0114
	global_atomic_add_f32 v6, v156, s[8:9]                     // 00000000E18C: DD348000 00089C06
	s_mov_b64 exec, s[36:37]                                   // 00000000E194: BEFE0124
	v_mov_b32_e32 v6, v83                                      // 00000000E198: 7E0C0353
	s_mov_b64 s[60:61], 0                                      // 00000000E19C: BEBC0180
	v_readlane_b32 s82, v3, 34                                 // 00000000E1A0: D2890052 00014503
	s_and_b32 s82, s82, 0xffffff                               // 00000000E1A8: 8652FF52 00FFFFFF
	s_cmp_lt_u32 s82, s66                                      // 00000000E1B0: BF0A4252
	s_cselect_b32 s20, s36, s60                                // 00000000E1B4: 85143C24
	v_readlane_b32 s82, v3, 35                                 // 00000000E1B8: D2890052 00014703
	s_and_b32 s82, s82, 0xffffff                               // 00000000E1C0: 8652FF52 00FFFFFF
	s_cmp_lt_u32 s82, s66                                      // 00000000E1C8: BF0A4252
	s_cselect_b32 s21, s36, s60                                // 00000000E1CC: 85153C24
	s_mov_b64 exec, s[20:21]                                   // 00000000E1D0: BEFE0114
	global_atomic_add_f32 v6, v157, s[8:9]                     // 00000000E1D4: DD348000 00089D06
	s_mov_b64 exec, s[36:37]                                   // 00000000E1DC: BEFE0124
	ds_write_b64 v20, v[126:127]                               // 00000000E1E0: D89A0000 00007E14
	ds_write_b64 v20, v[130:131] offset:2176                   // 00000000E1E8: D89A0880 00008214
	ds_write_b64 v20, v[134:135] offset:4352                   // 00000000E1F0: D89A1100 00008614
	ds_write_b64 v20, v[138:139] offset:6528                   // 00000000E1F8: D89A1980 00008A14
	ds_write_b64 v20, v[142:143] offset:8704                   // 00000000E200: D89A2200 00008E14
	ds_write_b64 v20, v[146:147] offset:10880                  // 00000000E208: D89A2A80 00009214
	ds_write_b64 v20, v[150:151] offset:13056                  // 00000000E210: D89A3300 00009614
	ds_write_b64 v20, v[154:155] offset:15232                  // 00000000E218: D89A3B80 00009A14
	ds_write_b64 v20, v[158:159] offset:17408                  // 00000000E220: D89A4400 00009E14
	s_waitcnt lgkmcnt(0)                                       // 00000000E228: BF8CC07F
	s_barrier                                                  // 00000000E22C: BF8A0000
	ds_read_b32 v126, v21                                      // 00000000E230: D86C0000 7E000015
	ds_read_b32 v127, v21 offset:64                            // 00000000E238: D86C0040 7F000015
	ds_read_b32 v130, v21 offset:2176                          // 00000000E240: D86C0880 82000015
	ds_read_b32 v131, v21 offset:2240                          // 00000000E248: D86C08C0 83000015
	ds_read_b32 v134, v21 offset:4352                          // 00000000E250: D86C1100 86000015
	ds_read_b32 v135, v21 offset:4416                          // 00000000E258: D86C1140 87000015
	ds_read_b32 v138, v21 offset:6528                          // 00000000E260: D86C1980 8A000015
	ds_read_b32 v139, v21 offset:6592                          // 00000000E268: D86C19C0 8B000015
	ds_read_b32 v142, v21 offset:8704                          // 00000000E270: D86C2200 8E000015
	ds_read_b32 v143, v21 offset:8768                          // 00000000E278: D86C2240 8F000015
	ds_read_b32 v146, v21 offset:10880                         // 00000000E280: D86C2A80 92000015
	ds_read_b32 v147, v21 offset:10944                         // 00000000E288: D86C2AC0 93000015
	ds_read_b32 v150, v21 offset:13056                         // 00000000E290: D86C3300 96000015
	ds_read_b32 v151, v21 offset:13120                         // 00000000E298: D86C3340 97000015
	ds_read_b32 v154, v21 offset:15232                         // 00000000E2A0: D86C3B80 9A000015
	ds_read_b32 v155, v21 offset:15296                         // 00000000E2A8: D86C3BC0 9B000015
	ds_read_b32 v158, v21 offset:17408                         // 00000000E2B0: D86C4400 9E000015
	ds_read_b32 v159, v21 offset:17472                         // 00000000E2B8: D86C4440 9F000015
	s_waitcnt lgkmcnt(0)                                       // 00000000E2C0: BF8CC07F
	v_mov_b32_e32 v7, 0                                        // 00000000E2C4: 7E0E0280
	s_mov_b64 exec, s[36:37]                                   // 00000000E2C8: BEFE0124
	v_mov_b32_e32 v6, v66                                      // 00000000E2CC: 7E0C0342
	s_mov_b64 s[60:61], 0                                      // 00000000E2D0: BEBC0180
	v_readlane_b32 s82, v3, 0                                  // 00000000E2D4: D2890052 00010103
	s_and_b32 s82, s82, 0xffffff                               // 00000000E2DC: 8652FF52 00FFFFFF
	s_cmp_lt_u32 s82, s66                                      // 00000000E2E4: BF0A4252
	s_cselect_b32 s20, s36, s60                                // 00000000E2E8: 85143C24
	v_readlane_b32 s82, v3, 1                                  // 00000000E2EC: D2890052 00010303
	s_and_b32 s82, s82, 0xffffff                               // 00000000E2F4: 8652FF52 00FFFFFF
	s_cmp_lt_u32 s82, s66                                      // 00000000E2FC: BF0A4252
	s_cselect_b32 s21, s36, s60                                // 00000000E300: 85153C24
	s_mov_b64 exec, s[20:21]                                   // 00000000E304: BEFE0114
	global_atomic_add_f32 v6, v126, s[8:9] offset:8            // 00000000E308: DD348008 00087E06
	s_mov_b64 exec, s[36:37]                                   // 00000000E310: BEFE0124
	v_mov_b32_e32 v6, v67                                      // 00000000E314: 7E0C0343
	s_mov_b64 s[60:61], 0                                      // 00000000E318: BEBC0180
	v_readlane_b32 s82, v3, 2                                  // 00000000E31C: D2890052 00010503
	s_and_b32 s82, s82, 0xffffff                               // 00000000E324: 8652FF52 00FFFFFF
	s_cmp_lt_u32 s82, s66                                      // 00000000E32C: BF0A4252
	s_cselect_b32 s20, s36, s60                                // 00000000E330: 85143C24
	v_readlane_b32 s82, v3, 3                                  // 00000000E334: D2890052 00010703
	s_and_b32 s82, s82, 0xffffff                               // 00000000E33C: 8652FF52 00FFFFFF
	s_cmp_lt_u32 s82, s66                                      // 00000000E344: BF0A4252
	s_cselect_b32 s21, s36, s60                                // 00000000E348: 85153C24
	s_mov_b64 exec, s[20:21]                                   // 00000000E34C: BEFE0114
	global_atomic_add_f32 v6, v127, s[8:9] offset:8            // 00000000E350: DD348008 00087F06
	s_mov_b64 exec, s[36:37]                                   // 00000000E358: BEFE0124
	v_mov_b32_e32 v6, v68                                      // 00000000E35C: 7E0C0344
	s_mov_b64 s[60:61], 0                                      // 00000000E360: BEBC0180
	v_readlane_b32 s82, v3, 4                                  // 00000000E364: D2890052 00010903
	s_and_b32 s82, s82, 0xffffff                               // 00000000E36C: 8652FF52 00FFFFFF
	s_cmp_lt_u32 s82, s66                                      // 00000000E374: BF0A4252
	s_cselect_b32 s20, s36, s60                                // 00000000E378: 85143C24
	v_readlane_b32 s82, v3, 5                                  // 00000000E37C: D2890052 00010B03
	s_and_b32 s82, s82, 0xffffff                               // 00000000E384: 8652FF52 00FFFFFF
	s_cmp_lt_u32 s82, s66                                      // 00000000E38C: BF0A4252
	s_cselect_b32 s21, s36, s60                                // 00000000E390: 85153C24
	s_mov_b64 exec, s[20:21]                                   // 00000000E394: BEFE0114
	global_atomic_add_f32 v6, v130, s[8:9] offset:8            // 00000000E398: DD348008 00088206
	s_mov_b64 exec, s[36:37]                                   // 00000000E3A0: BEFE0124
	v_mov_b32_e32 v6, v69                                      // 00000000E3A4: 7E0C0345
	s_mov_b64 s[60:61], 0                                      // 00000000E3A8: BEBC0180
	v_readlane_b32 s82, v3, 6                                  // 00000000E3AC: D2890052 00010D03
	s_and_b32 s82, s82, 0xffffff                               // 00000000E3B4: 8652FF52 00FFFFFF
	s_cmp_lt_u32 s82, s66                                      // 00000000E3BC: BF0A4252
	s_cselect_b32 s20, s36, s60                                // 00000000E3C0: 85143C24
	v_readlane_b32 s82, v3, 7                                  // 00000000E3C4: D2890052 00010F03
	s_and_b32 s82, s82, 0xffffff                               // 00000000E3CC: 8652FF52 00FFFFFF
	s_cmp_lt_u32 s82, s66                                      // 00000000E3D4: BF0A4252
	s_cselect_b32 s21, s36, s60                                // 00000000E3D8: 85153C24
	s_mov_b64 exec, s[20:21]                                   // 00000000E3DC: BEFE0114
	global_atomic_add_f32 v6, v131, s[8:9] offset:8            // 00000000E3E0: DD348008 00088306
	s_mov_b64 exec, s[36:37]                                   // 00000000E3E8: BEFE0124
	v_mov_b32_e32 v6, v70                                      // 00000000E3EC: 7E0C0346
	s_mov_b64 s[60:61], 0                                      // 00000000E3F0: BEBC0180
	v_readlane_b32 s82, v3, 8                                  // 00000000E3F4: D2890052 00011103
	s_and_b32 s82, s82, 0xffffff                               // 00000000E3FC: 8652FF52 00FFFFFF
	s_cmp_lt_u32 s82, s66                                      // 00000000E404: BF0A4252
	s_cselect_b32 s20, s36, s60                                // 00000000E408: 85143C24
	v_readlane_b32 s82, v3, 9                                  // 00000000E40C: D2890052 00011303
	s_and_b32 s82, s82, 0xffffff                               // 00000000E414: 8652FF52 00FFFFFF
	s_cmp_lt_u32 s82, s66                                      // 00000000E41C: BF0A4252
	s_cselect_b32 s21, s36, s60                                // 00000000E420: 85153C24
	s_mov_b64 exec, s[20:21]                                   // 00000000E424: BEFE0114
	global_atomic_add_f32 v6, v134, s[8:9] offset:8            // 00000000E428: DD348008 00088606
	s_mov_b64 exec, s[36:37]                                   // 00000000E430: BEFE0124
	v_mov_b32_e32 v6, v71                                      // 00000000E434: 7E0C0347
	s_mov_b64 s[60:61], 0                                      // 00000000E438: BEBC0180
	v_readlane_b32 s82, v3, 10                                 // 00000000E43C: D2890052 00011503
	s_and_b32 s82, s82, 0xffffff                               // 00000000E444: 8652FF52 00FFFFFF
	s_cmp_lt_u32 s82, s66                                      // 00000000E44C: BF0A4252
	s_cselect_b32 s20, s36, s60                                // 00000000E450: 85143C24
	v_readlane_b32 s82, v3, 11                                 // 00000000E454: D2890052 00011703
	s_and_b32 s82, s82, 0xffffff                               // 00000000E45C: 8652FF52 00FFFFFF
	s_cmp_lt_u32 s82, s66                                      // 00000000E464: BF0A4252
	s_cselect_b32 s21, s36, s60                                // 00000000E468: 85153C24
	s_mov_b64 exec, s[20:21]                                   // 00000000E46C: BEFE0114
	global_atomic_add_f32 v6, v135, s[8:9] offset:8            // 00000000E470: DD348008 00088706
	s_mov_b64 exec, s[36:37]                                   // 00000000E478: BEFE0124
	v_mov_b32_e32 v6, v72                                      // 00000000E47C: 7E0C0348
	s_mov_b64 s[60:61], 0                                      // 00000000E480: BEBC0180
	v_readlane_b32 s82, v3, 12                                 // 00000000E484: D2890052 00011903
	s_and_b32 s82, s82, 0xffffff                               // 00000000E48C: 8652FF52 00FFFFFF
	s_cmp_lt_u32 s82, s66                                      // 00000000E494: BF0A4252
	s_cselect_b32 s20, s36, s60                                // 00000000E498: 85143C24
	v_readlane_b32 s82, v3, 13                                 // 00000000E49C: D2890052 00011B03
	s_and_b32 s82, s82, 0xffffff                               // 00000000E4A4: 8652FF52 00FFFFFF
	s_cmp_lt_u32 s82, s66                                      // 00000000E4AC: BF0A4252
	s_cselect_b32 s21, s36, s60                                // 00000000E4B0: 85153C24
	s_mov_b64 exec, s[20:21]                                   // 00000000E4B4: BEFE0114
	global_atomic_add_f32 v6, v138, s[8:9] offset:8            // 00000000E4B8: DD348008 00088A06
	s_mov_b64 exec, s[36:37]                                   // 00000000E4C0: BEFE0124
	v_mov_b32_e32 v6, v73                                      // 00000000E4C4: 7E0C0349
	s_mov_b64 s[60:61], 0                                      // 00000000E4C8: BEBC0180
	v_readlane_b32 s82, v3, 14                                 // 00000000E4CC: D2890052 00011D03
	s_and_b32 s82, s82, 0xffffff                               // 00000000E4D4: 8652FF52 00FFFFFF
	s_cmp_lt_u32 s82, s66                                      // 00000000E4DC: BF0A4252
	s_cselect_b32 s20, s36, s60                                // 00000000E4E0: 85143C24
	v_readlane_b32 s82, v3, 15                                 // 00000000E4E4: D2890052 00011F03
	s_and_b32 s82, s82, 0xffffff                               // 00000000E4EC: 8652FF52 00FFFFFF
	s_cmp_lt_u32 s82, s66                                      // 00000000E4F4: BF0A4252
	s_cselect_b32 s21, s36, s60                                // 00000000E4F8: 85153C24
	s_mov_b64 exec, s[20:21]                                   // 00000000E4FC: BEFE0114
	global_atomic_add_f32 v6, v139, s[8:9] offset:8            // 00000000E500: DD348008 00088B06
	s_mov_b64 exec, s[36:37]                                   // 00000000E508: BEFE0124
	v_mov_b32_e32 v6, v74                                      // 00000000E50C: 7E0C034A
	s_mov_b64 s[60:61], 0                                      // 00000000E510: BEBC0180
	v_readlane_b32 s82, v3, 16                                 // 00000000E514: D2890052 00012103
	s_and_b32 s82, s82, 0xffffff                               // 00000000E51C: 8652FF52 00FFFFFF
	s_cmp_lt_u32 s82, s66                                      // 00000000E524: BF0A4252
	s_cselect_b32 s20, s36, s60                                // 00000000E528: 85143C24
	v_readlane_b32 s82, v3, 17                                 // 00000000E52C: D2890052 00012303
	s_and_b32 s82, s82, 0xffffff                               // 00000000E534: 8652FF52 00FFFFFF
	s_cmp_lt_u32 s82, s66                                      // 00000000E53C: BF0A4252
	s_cselect_b32 s21, s36, s60                                // 00000000E540: 85153C24
	s_mov_b64 exec, s[20:21]                                   // 00000000E544: BEFE0114
	global_atomic_add_f32 v6, v142, s[8:9] offset:8            // 00000000E548: DD348008 00088E06
	s_mov_b64 exec, s[36:37]                                   // 00000000E550: BEFE0124
	v_mov_b32_e32 v6, v75                                      // 00000000E554: 7E0C034B
	s_mov_b64 s[60:61], 0                                      // 00000000E558: BEBC0180
	v_readlane_b32 s82, v3, 18                                 // 00000000E55C: D2890052 00012503
	s_and_b32 s82, s82, 0xffffff                               // 00000000E564: 8652FF52 00FFFFFF
	s_cmp_lt_u32 s82, s66                                      // 00000000E56C: BF0A4252
	s_cselect_b32 s20, s36, s60                                // 00000000E570: 85143C24
	v_readlane_b32 s82, v3, 19                                 // 00000000E574: D2890052 00012703
	s_and_b32 s82, s82, 0xffffff                               // 00000000E57C: 8652FF52 00FFFFFF
	s_cmp_lt_u32 s82, s66                                      // 00000000E584: BF0A4252
	s_cselect_b32 s21, s36, s60                                // 00000000E588: 85153C24
	s_mov_b64 exec, s[20:21]                                   // 00000000E58C: BEFE0114
	global_atomic_add_f32 v6, v143, s[8:9] offset:8            // 00000000E590: DD348008 00088F06
	s_mov_b64 exec, s[36:37]                                   // 00000000E598: BEFE0124
	v_mov_b32_e32 v6, v76                                      // 00000000E59C: 7E0C034C
	s_mov_b64 s[60:61], 0                                      // 00000000E5A0: BEBC0180
	v_readlane_b32 s82, v3, 20                                 // 00000000E5A4: D2890052 00012903
	s_and_b32 s82, s82, 0xffffff                               // 00000000E5AC: 8652FF52 00FFFFFF
	s_cmp_lt_u32 s82, s66                                      // 00000000E5B4: BF0A4252
	s_cselect_b32 s20, s36, s60                                // 00000000E5B8: 85143C24
	v_readlane_b32 s82, v3, 21                                 // 00000000E5BC: D2890052 00012B03
	s_and_b32 s82, s82, 0xffffff                               // 00000000E5C4: 8652FF52 00FFFFFF
	s_cmp_lt_u32 s82, s66                                      // 00000000E5CC: BF0A4252
	s_cselect_b32 s21, s36, s60                                // 00000000E5D0: 85153C24
	s_mov_b64 exec, s[20:21]                                   // 00000000E5D4: BEFE0114
	global_atomic_add_f32 v6, v146, s[8:9] offset:8            // 00000000E5D8: DD348008 00089206
	s_mov_b64 exec, s[36:37]                                   // 00000000E5E0: BEFE0124
	v_mov_b32_e32 v6, v77                                      // 00000000E5E4: 7E0C034D
	s_mov_b64 s[60:61], 0                                      // 00000000E5E8: BEBC0180
	v_readlane_b32 s82, v3, 22                                 // 00000000E5EC: D2890052 00012D03
	s_and_b32 s82, s82, 0xffffff                               // 00000000E5F4: 8652FF52 00FFFFFF
	s_cmp_lt_u32 s82, s66                                      // 00000000E5FC: BF0A4252
	s_cselect_b32 s20, s36, s60                                // 00000000E600: 85143C24
	v_readlane_b32 s82, v3, 23                                 // 00000000E604: D2890052 00012F03
	s_and_b32 s82, s82, 0xffffff                               // 00000000E60C: 8652FF52 00FFFFFF
	s_cmp_lt_u32 s82, s66                                      // 00000000E614: BF0A4252
	s_cselect_b32 s21, s36, s60                                // 00000000E618: 85153C24
	s_mov_b64 exec, s[20:21]                                   // 00000000E61C: BEFE0114
	global_atomic_add_f32 v6, v147, s[8:9] offset:8            // 00000000E620: DD348008 00089306
	s_mov_b64 exec, s[36:37]                                   // 00000000E628: BEFE0124
	v_mov_b32_e32 v6, v78                                      // 00000000E62C: 7E0C034E
	s_mov_b64 s[60:61], 0                                      // 00000000E630: BEBC0180
	v_readlane_b32 s82, v3, 24                                 // 00000000E634: D2890052 00013103
	s_and_b32 s82, s82, 0xffffff                               // 00000000E63C: 8652FF52 00FFFFFF
	s_cmp_lt_u32 s82, s66                                      // 00000000E644: BF0A4252
	s_cselect_b32 s20, s36, s60                                // 00000000E648: 85143C24
	v_readlane_b32 s82, v3, 25                                 // 00000000E64C: D2890052 00013303
	s_and_b32 s82, s82, 0xffffff                               // 00000000E654: 8652FF52 00FFFFFF
	s_cmp_lt_u32 s82, s66                                      // 00000000E65C: BF0A4252
	s_cselect_b32 s21, s36, s60                                // 00000000E660: 85153C24
	s_mov_b64 exec, s[20:21]                                   // 00000000E664: BEFE0114
	global_atomic_add_f32 v6, v150, s[8:9] offset:8            // 00000000E668: DD348008 00089606
	s_mov_b64 exec, s[36:37]                                   // 00000000E670: BEFE0124
	v_mov_b32_e32 v6, v79                                      // 00000000E674: 7E0C034F
	s_mov_b64 s[60:61], 0                                      // 00000000E678: BEBC0180
	v_readlane_b32 s82, v3, 26                                 // 00000000E67C: D2890052 00013503
	s_and_b32 s82, s82, 0xffffff                               // 00000000E684: 8652FF52 00FFFFFF
	s_cmp_lt_u32 s82, s66                                      // 00000000E68C: BF0A4252
	s_cselect_b32 s20, s36, s60                                // 00000000E690: 85143C24
	v_readlane_b32 s82, v3, 27                                 // 00000000E694: D2890052 00013703
	s_and_b32 s82, s82, 0xffffff                               // 00000000E69C: 8652FF52 00FFFFFF
	s_cmp_lt_u32 s82, s66                                      // 00000000E6A4: BF0A4252
	s_cselect_b32 s21, s36, s60                                // 00000000E6A8: 85153C24
	s_mov_b64 exec, s[20:21]                                   // 00000000E6AC: BEFE0114
	global_atomic_add_f32 v6, v151, s[8:9] offset:8            // 00000000E6B0: DD348008 00089706
	s_mov_b64 exec, s[36:37]                                   // 00000000E6B8: BEFE0124
	v_mov_b32_e32 v6, v80                                      // 00000000E6BC: 7E0C0350
	s_mov_b64 s[60:61], 0                                      // 00000000E6C0: BEBC0180
	v_readlane_b32 s82, v3, 28                                 // 00000000E6C4: D2890052 00013903
	s_and_b32 s82, s82, 0xffffff                               // 00000000E6CC: 8652FF52 00FFFFFF
	s_cmp_lt_u32 s82, s66                                      // 00000000E6D4: BF0A4252
	s_cselect_b32 s20, s36, s60                                // 00000000E6D8: 85143C24
	v_readlane_b32 s82, v3, 29                                 // 00000000E6DC: D2890052 00013B03
	s_and_b32 s82, s82, 0xffffff                               // 00000000E6E4: 8652FF52 00FFFFFF
	s_cmp_lt_u32 s82, s66                                      // 00000000E6EC: BF0A4252
	s_cselect_b32 s21, s36, s60                                // 00000000E6F0: 85153C24
	s_mov_b64 exec, s[20:21]                                   // 00000000E6F4: BEFE0114
	global_atomic_add_f32 v6, v154, s[8:9] offset:8            // 00000000E6F8: DD348008 00089A06
	s_mov_b64 exec, s[36:37]                                   // 00000000E700: BEFE0124
	v_mov_b32_e32 v6, v81                                      // 00000000E704: 7E0C0351
	s_mov_b64 s[60:61], 0                                      // 00000000E708: BEBC0180
	v_readlane_b32 s82, v3, 30                                 // 00000000E70C: D2890052 00013D03
	s_and_b32 s82, s82, 0xffffff                               // 00000000E714: 8652FF52 00FFFFFF
	s_cmp_lt_u32 s82, s66                                      // 00000000E71C: BF0A4252
	s_cselect_b32 s20, s36, s60                                // 00000000E720: 85143C24
	v_readlane_b32 s82, v3, 31                                 // 00000000E724: D2890052 00013F03
	s_and_b32 s82, s82, 0xffffff                               // 00000000E72C: 8652FF52 00FFFFFF
	s_cmp_lt_u32 s82, s66                                      // 00000000E734: BF0A4252
	s_cselect_b32 s21, s36, s60                                // 00000000E738: 85153C24
	s_mov_b64 exec, s[20:21]                                   // 00000000E73C: BEFE0114
	global_atomic_add_f32 v6, v155, s[8:9] offset:8            // 00000000E740: DD348008 00089B06
	s_mov_b64 exec, s[36:37]                                   // 00000000E748: BEFE0124
	v_mov_b32_e32 v6, v82                                      // 00000000E74C: 7E0C0352
	s_mov_b64 s[60:61], 0                                      // 00000000E750: BEBC0180
	v_readlane_b32 s82, v3, 32                                 // 00000000E754: D2890052 00014103
	s_and_b32 s82, s82, 0xffffff                               // 00000000E75C: 8652FF52 00FFFFFF
	s_cmp_lt_u32 s82, s66                                      // 00000000E764: BF0A4252
	s_cselect_b32 s20, s36, s60                                // 00000000E768: 85143C24
	v_readlane_b32 s82, v3, 33                                 // 00000000E76C: D2890052 00014303
	s_and_b32 s82, s82, 0xffffff                               // 00000000E774: 8652FF52 00FFFFFF
	s_cmp_lt_u32 s82, s66                                      // 00000000E77C: BF0A4252
	s_cselect_b32 s21, s36, s60                                // 00000000E780: 85153C24
	s_mov_b64 exec, s[20:21]                                   // 00000000E784: BEFE0114
	global_atomic_add_f32 v6, v158, s[8:9] offset:8            // 00000000E788: DD348008 00089E06
	s_mov_b64 exec, s[36:37]                                   // 00000000E790: BEFE0124
	v_mov_b32_e32 v6, v83                                      // 00000000E794: 7E0C0353
	s_mov_b64 s[60:61], 0                                      // 00000000E798: BEBC0180
	v_readlane_b32 s82, v3, 34                                 // 00000000E79C: D2890052 00014503
	s_and_b32 s82, s82, 0xffffff                               // 00000000E7A4: 8652FF52 00FFFFFF
	s_cmp_lt_u32 s82, s66                                      // 00000000E7AC: BF0A4252
	s_cselect_b32 s20, s36, s60                                // 00000000E7B0: 85143C24
	v_readlane_b32 s82, v3, 35                                 // 00000000E7B4: D2890052 00014703
	s_and_b32 s82, s82, 0xffffff                               // 00000000E7BC: 8652FF52 00FFFFFF
	s_cmp_lt_u32 s82, s66                                      // 00000000E7C4: BF0A4252
	s_cselect_b32 s21, s36, s60                                // 00000000E7C8: 85153C24
	s_mov_b64 exec, s[20:21]                                   // 00000000E7CC: BEFE0114
	global_atomic_add_f32 v6, v159, s[8:9] offset:8            // 00000000E7D0: DD348008 00089F06
	s_mov_b64 exec, s[36:37]                                   // 00000000E7D8: BEFE0124
	s_branch label_2F7B                                        // 00000000E7DC: BF820000

000000000000e7e0 <label_2F7B>:
	s_waitcnt vmcnt(0) expcnt(0) lgkmcnt(0)                    // 00000000E7E0: BF8C0000
	s_endpgm                                                   // 00000000E7E4: BF810000
